;; amdgpu-corpus repo=ROCm/rocFFT kind=compiled arch=gfx950 opt=O3
	.text
	.amdgcn_target "amdgcn-amd-amdhsa--gfx950"
	.amdhsa_code_object_version 6
	.protected	bluestein_single_back_len1176_dim1_dp_op_CI_CI ; -- Begin function bluestein_single_back_len1176_dim1_dp_op_CI_CI
	.globl	bluestein_single_back_len1176_dim1_dp_op_CI_CI
	.p2align	8
	.type	bluestein_single_back_len1176_dim1_dp_op_CI_CI,@function
bluestein_single_back_len1176_dim1_dp_op_CI_CI: ; @bluestein_single_back_len1176_dim1_dp_op_CI_CI
; %bb.0:
	s_load_dwordx4 s[8:11], s[0:1], 0x28
	v_mul_u32_u24_e32 v1, 0x493, v0
	v_mov_b32_e32 v157, 0
	v_add_u32_sdwa v6, s2, v1 dst_sel:DWORD dst_unused:UNUSED_PAD src0_sel:DWORD src1_sel:WORD_1
	v_mov_b32_e32 v7, v157
	s_waitcnt lgkmcnt(0)
	v_cmp_gt_u64_e32 vcc, s[8:9], v[6:7]
	s_and_saveexec_b64 s[2:3], vcc
	s_cbranch_execz .LBB0_31
; %bb.1:
	s_load_dwordx4 s[4:7], s[0:1], 0x18
	s_load_dwordx2 s[12:13], s[0:1], 0x0
	v_mov_b32_e32 v2, s10
	v_mov_b32_e32 v3, s11
	;; [unrolled: 1-line block ×3, first 2 shown]
	s_waitcnt lgkmcnt(0)
	s_load_dwordx4 s[8:11], s[4:5], 0x0
	v_mul_lo_u16_sdwa v1, v1, v4 dst_sel:DWORD dst_unused:UNUSED_PAD src0_sel:WORD_1 src1_sel:DWORD
	v_sub_u16_e32 v156, v0, v1
	v_accvgpr_write_b32 a8, v6
	v_lshlrev_b32_e32 v74, 4, v156
	s_waitcnt lgkmcnt(0)
	v_mad_u64_u32 v[0:1], s[2:3], s10, v6, 0
	v_mov_b32_e32 v4, v1
	v_mad_u64_u32 v[4:5], s[2:3], s11, v6, v[4:5]
	v_mov_b32_e32 v1, v4
	v_mad_u64_u32 v[4:5], s[2:3], s8, v156, 0
	v_mov_b32_e32 v6, v5
	v_mad_u64_u32 v[6:7], s[2:3], s9, v156, v[6:7]
	v_mov_b32_e32 v75, v157
	v_lshl_add_u64 v[72:73], s[12:13], 0, v[74:75]
	s_mul_i32 s2, s9, 0x24c
	s_mul_hi_u32 s3, s8, 0x24c
	s_movk_i32 s4, 0x2000
	v_mov_b32_e32 v5, v6
	v_lshl_add_u64 v[48:49], v[0:1], 4, v[2:3]
	s_add_i32 s15, s3, s2
	s_mul_i32 s14, s8, 0x24c
	v_add_co_u32_e32 v20, vcc, s4, v72
	v_lshl_add_u64 v[0:1], v[4:5], 4, v[48:49]
	s_lshl_b64 s[2:3], s[14:15], 4
	v_addc_co_u32_e32 v21, vcc, 0, v73, vcc
	v_lshl_add_u64 v[2:3], v[0:1], 0, s[2:3]
	global_load_dwordx4 v[8:11], v[0:1], off
	global_load_dwordx4 v[4:7], v[2:3], off
	global_load_dwordx4 v[58:61], v[20:21], off offset:1216
	global_load_dwordx4 v[62:65], v74, s[12:13]
	s_mul_hi_u32 s5, s8, 0xfffffdec
	s_mul_i32 s4, s9, 0xfffffdec
	s_sub_i32 s5, s5, s8
	s_add_i32 s17, s5, s4
	s_mul_i32 s16, s8, 0xfffffdec
	s_lshl_b64 s[18:19], s[16:17], 4
	v_lshl_add_u64 v[12:13], v[2:3], 0, s[18:19]
	global_load_dwordx4 v[80:83], v74, s[12:13] offset:896
	global_load_dwordx4 v[0:3], v[12:13], off
	v_lshl_add_u64 v[16:17], v[12:13], 0, s[2:3]
	s_load_dwordx4 s[4:7], s[6:7], 0x0
	global_load_dwordx4 v[144:147], v74, s[12:13] offset:1792
	global_load_dwordx4 v[136:139], v74, s[12:13] offset:2688
	global_load_dwordx4 v[112:115], v74, s[12:13] offset:3584
	global_load_dwordx4 v[148:151], v[20:21], off offset:2112
	global_load_dwordx4 v[12:15], v[16:17], off
	s_movk_i32 s20, 0x3000
	v_add_co_u32_e32 v68, vcc, s20, v72
	v_lshl_add_u64 v[22:23], v[16:17], 0, s[18:19]
	s_nop 0
	v_addc_co_u32_e32 v69, vcc, 0, v73, vcc
	global_load_dwordx4 v[16:19], v[22:23], off
	global_load_dwordx4 v[140:143], v[20:21], off offset:3008
	global_load_dwordx4 v[132:135], v[20:21], off offset:3904
	;; [unrolled: 1-line block ×4, first 2 shown]
	v_lshl_add_u64 v[20:21], v[22:23], 0, s[2:3]
	global_load_dwordx4 v[44:47], v[20:21], off
	v_lshl_add_u64 v[20:21], v[20:21], 0, s[18:19]
	global_load_dwordx4 v[40:43], v[20:21], off
	;; [unrolled: 2-line block ×4, first 2 shown]
	s_movk_i32 s21, 0x1000
	v_lshl_add_u64 v[20:21], v[20:21], 0, s[2:3]
	v_add_co_u32_e32 v50, vcc, s21, v72
	global_load_dwordx4 v[28:31], v[20:21], off
	s_nop 0
	v_addc_co_u32_e32 v51, vcc, 0, v73, vcc
	v_lshl_add_u64 v[20:21], v[20:21], 0, s[18:19]
	global_load_dwordx4 v[24:27], v[20:21], off
	global_load_dwordx4 v[124:127], v[50:51], off offset:384
	v_lshl_add_u64 v[56:57], v[20:21], 0, s[2:3]
	global_load_dwordx4 v[20:23], v[56:57], off
	v_or_b32_e32 v75, 0x1c0, v156
	s_load_dwordx2 s[10:11], s[0:1], 0x38
	v_accvgpr_write_b32 a0, v72
	v_accvgpr_write_b32 a3, v75
	;; [unrolled: 1-line block ×3, first 2 shown]
	s_waitcnt vmcnt(21)
	v_accvgpr_write_b32 a4, v58
	s_waitcnt vmcnt(20)
	v_mul_f64 v[52:53], v[10:11], v[64:65]
	v_mul_f64 v[54:55], v[8:9], v[64:65]
	v_fmac_f64_e32 v[52:53], v[8:9], v[62:63]
	v_fma_f64 v[54:55], v[10:11], v[62:63], -v[54:55]
	v_mul_f64 v[8:9], v[6:7], v[60:61]
	v_mul_f64 v[10:11], v[4:5], v[60:61]
	v_fmac_f64_e32 v[8:9], v[4:5], v[58:59]
	v_fma_f64 v[10:11], v[6:7], v[58:59], -v[10:11]
	ds_write_b128 v74, v[52:55]
	ds_write_b128 v74, v[8:11] offset:9408
	v_lshl_add_u64 v[4:5], v[56:57], 0, s[18:19]
	v_mad_u64_u32 v[8:9], s[20:21], s8, v75, 0
	global_load_dwordx4 v[52:55], v[4:5], off
	global_load_dwordx4 v[96:99], v[50:51], off offset:1280
	v_lshl_add_u64 v[4:5], v[4:5], 0, s[2:3]
	v_mov_b32_e32 v10, v9
	v_accvgpr_write_b32 a34, v62
	v_accvgpr_write_b32 a5, v59
	;; [unrolled: 1-line block ×4, first 2 shown]
	global_load_dwordx4 v[56:59], v[4:5], off
	v_lshl_add_u64 v[4:5], v[4:5], 0, s[18:19]
	v_mad_u64_u32 v[10:11], s[20:21], s9, v75, v[10:11]
	v_accvgpr_write_b32 a35, v63
	v_accvgpr_write_b32 a36, v64
	;; [unrolled: 1-line block ×3, first 2 shown]
	global_load_dwordx4 v[60:63], v[4:5], off
	global_load_dwordx4 v[108:111], v[50:51], off offset:2176
	v_lshl_add_u64 v[4:5], v[4:5], 0, s[2:3]
	v_mov_b32_e32 v9, v10
	global_load_dwordx4 v[64:67], v[4:5], off
	global_load_dwordx4 v[128:131], v[68:69], off offset:2496
	global_load_dwordx4 v[120:123], v[68:69], off offset:3392
	v_lshl_add_u64 v[8:9], v[8:9], 4, v[48:49]
	global_load_dwordx4 v[68:71], v[8:9], off
	v_lshlrev_b32_e32 v8, 4, v75
	v_accvgpr_write_b32 a146, v8
	global_load_dwordx4 v[84:87], v8, s[12:13]
	v_mov_b32_e32 v8, 0x380
	v_mad_u64_u32 v[10:11], s[20:21], s8, v8, v[4:5]
	s_mul_i32 s8, s9, 0x380
	v_add_u32_e32 v11, s8, v11
	s_movk_i32 s8, 0x4000
	v_add_co_u32_e32 v4, vcc, s8, v72
	s_waitcnt vmcnt(28)
	v_mul_f64 v[6:7], v[2:3], v[82:83]
	v_addc_co_u32_e32 v5, vcc, 0, v73, vcc
	v_fmac_f64_e32 v[6:7], v[0:1], v[80:81]
	global_load_dwordx4 v[76:79], v[10:11], off
	global_load_dwordx4 v[88:91], v[4:5], off offset:192
	v_mul_f64 v[0:1], v[0:1], v[82:83]
	v_accvgpr_write_b32 a10, v80
	v_fma_f64 v[8:9], v[2:3], v[80:81], -v[0:1]
	v_lshl_add_u64 v[0:1], v[10:11], 0, s[18:19]
	v_accvgpr_write_b32 a11, v81
	v_accvgpr_write_b32 a12, v82
	;; [unrolled: 1-line block ×3, first 2 shown]
	global_load_dwordx4 v[80:83], v[0:1], off
	global_load_dwordx4 v[104:107], v[50:51], off offset:3968
	ds_write_b128 v74, v[6:9] offset:896
	v_lshl_add_u64 v[0:1], v[0:1], 0, s[2:3]
	global_load_dwordx4 v[48:51], v[0:1], off
	global_load_dwordx4 v[116:119], v[4:5], off offset:1088
	s_waitcnt vmcnt(29)
	v_mul_f64 v[6:7], v[14:15], v[150:151]
	v_mul_f64 v[2:3], v[12:13], v[150:151]
	v_fmac_f64_e32 v[6:7], v[12:13], v[148:149]
	v_fma_f64 v[8:9], v[14:15], v[148:149], -v[2:3]
	ds_write_b128 v74, v[6:9] offset:10304
	s_waitcnt vmcnt(28)
	v_mul_f64 v[6:7], v[18:19], v[146:147]
	v_mul_f64 v[2:3], v[16:17], v[146:147]
	v_fmac_f64_e32 v[6:7], v[16:17], v[144:145]
	v_fma_f64 v[8:9], v[18:19], v[144:145], -v[2:3]
	ds_write_b128 v74, v[6:9] offset:1792
	;; [unrolled: 6-line block ×11, first 2 shown]
	v_mul_f64 v[6:7], v[62:63], v[110:111]
	v_mul_f64 v[2:3], v[60:61], v[110:111]
	v_fmac_f64_e32 v[6:7], v[60:61], v[108:109]
	v_fma_f64 v[8:9], v[62:63], v[108:109], -v[2:3]
	ds_write_b128 v74, v[6:9] offset:6272
	s_waitcnt vmcnt(8)
	v_mul_f64 v[6:7], v[66:67], v[122:123]
	v_mul_f64 v[2:3], v[64:65], v[122:123]
	v_fmac_f64_e32 v[6:7], v[64:65], v[120:121]
	v_fma_f64 v[8:9], v[66:67], v[120:121], -v[2:3]
	ds_write_b128 v74, v[6:9] offset:15680
	s_waitcnt vmcnt(6)
	;; [unrolled: 6-line block ×3, first 2 shown]
	v_mul_f64 v[6:7], v[78:79], v[90:91]
	v_mul_f64 v[2:3], v[76:77], v[90:91]
	v_fmac_f64_e32 v[6:7], v[76:77], v[88:89]
	v_fma_f64 v[8:9], v[78:79], v[88:89], -v[2:3]
	ds_write_b128 v74, v[6:9] offset:16576
	v_accvgpr_write_b32 a82, v148
	s_waitcnt vmcnt(2)
	v_mul_f64 v[6:7], v[82:83], v[106:107]
	v_mul_f64 v[2:3], v[80:81], v[106:107]
	v_fmac_f64_e32 v[6:7], v[80:81], v[104:105]
	v_fma_f64 v[8:9], v[82:83], v[104:105], -v[2:3]
	v_accvgpr_write_b32 a78, v144
	v_accvgpr_write_b32 a74, v140
	;; [unrolled: 1-line block ×15, first 2 shown]
	ds_write_b128 v74, v[6:9] offset:8064
	s_waitcnt vmcnt(0)
	v_mul_f64 v[6:7], v[50:51], v[118:119]
	v_mul_f64 v[2:3], v[48:49], v[118:119]
	v_accvgpr_write_b32 a50, v116
	v_accvgpr_write_b32 a83, v149
	;; [unrolled: 1-line block ×49, first 2 shown]
	v_fmac_f64_e32 v[6:7], v[48:49], v[116:117]
	v_accvgpr_write_b32 a51, v117
	v_accvgpr_write_b32 a52, v118
	;; [unrolled: 1-line block ×3, first 2 shown]
	v_fma_f64 v[8:9], v[50:51], v[116:117], -v[2:3]
	v_cmp_gt_u16_e64 s[2:3], 28, v156
	ds_write_b128 v74, v[6:9] offset:17472
	s_and_saveexec_b64 s[8:9], s[2:3]
	s_cbranch_execz .LBB0_3
; %bb.2:
	v_accvgpr_read_b32 v7, a1
	v_accvgpr_read_b32 v6, a0
	v_add_co_u32_e32 v6, vcc, 0x2000, v6
	v_lshl_add_u64 v[10:11], s[16:17], 4, v[0:1]
	s_nop 0
	v_addc_co_u32_e32 v7, vcc, 0, v7, vcc
	global_load_dwordx4 v[0:3], v[10:11], off
	v_lshl_add_u64 v[18:19], s[14:15], 4, v[10:11]
	global_load_dwordx4 v[6:9], v[6:7], off offset:768
	s_nop 0
	global_load_dwordx4 v[10:13], v[4:5], off offset:1984
	global_load_dwordx4 v[14:17], v[18:19], off
	s_waitcnt vmcnt(2)
	v_mul_f64 v[4:5], v[2:3], v[8:9]
	v_mul_f64 v[18:19], v[0:1], v[8:9]
	s_waitcnt vmcnt(0)
	v_mul_f64 v[8:9], v[16:17], v[12:13]
	v_mul_f64 v[12:13], v[14:15], v[12:13]
	v_fmac_f64_e32 v[4:5], v[0:1], v[6:7]
	v_fma_f64 v[6:7], v[2:3], v[6:7], -v[18:19]
	v_fmac_f64_e32 v[8:9], v[14:15], v[10:11]
	v_fma_f64 v[10:11], v[16:17], v[10:11], -v[12:13]
	ds_write_b128 v74, v[4:7] offset:8960
	ds_write_b128 v74, v[8:11] offset:18368
.LBB0_3:
	s_or_b64 exec, exec, s[8:9]
	s_waitcnt lgkmcnt(0)
	; wave barrier
	s_waitcnt lgkmcnt(0)
	ds_read_b128 v[108:111], v74
	ds_read_b128 v[96:99], v74 offset:896
	ds_read_b128 v[52:55], v74 offset:9408
	;; [unrolled: 1-line block ×19, first 2 shown]
                                        ; implicit-def: $vgpr0_vgpr1
                                        ; implicit-def: $vgpr16_vgpr17
	s_and_saveexec_b64 s[8:9], s[2:3]
	s_cbranch_execz .LBB0_5
; %bb.4:
	ds_read_b128 v[0:3], v74 offset:8960
	ds_read_b128 v[16:19], v74 offset:18368
.LBB0_5:
	s_or_b64 exec, exec, s[8:9]
	s_waitcnt lgkmcnt(14)
	v_add_f64 v[52:53], v[108:109], -v[52:53]
	v_add_f64 v[54:55], v[110:111], -v[54:55]
	s_waitcnt lgkmcnt(0)
	v_add_f64 v[8:9], v[4:5], -v[8:9]
	s_load_dwordx2 s[8:9], s[0:1], 0x8
	v_lshl_add_u64 v[58:59], v[156:157], 0, 56
	s_mov_b64 s[0:1], 0x70
	v_fma_f64 v[70:71], v[108:109], 2.0, -v[52:53]
	v_fma_f64 v[72:73], v[110:111], 2.0, -v[54:55]
	v_add_f64 v[76:77], v[96:97], -v[104:105]
	v_add_f64 v[78:79], v[98:99], -v[106:107]
	v_fma_f64 v[104:105], v[4:5], 2.0, -v[8:9]
	v_add_f64 v[4:5], v[0:1], -v[16:17]
	v_lshlrev_b32_e32 v16, 5, v156
	v_lshl_add_u64 v[56:57], v[156:157], 0, s[0:1]
	s_mov_b64 s[0:1], 0xa8
	v_fma_f64 v[96:97], v[96:97], 2.0, -v[76:77]
	v_fma_f64 v[98:99], v[98:99], 2.0, -v[78:79]
	v_add_f64 v[100:101], v[92:93], -v[100:101]
	v_add_f64 v[102:103], v[94:95], -v[102:103]
	s_waitcnt lgkmcnt(0)
	; wave barrier
	s_waitcnt lgkmcnt(0)
	ds_write_b128 v16, v[70:73]
	v_accvgpr_write_b32 a88, v16
	ds_write_b128 v16, v[52:55] offset:16
	v_lshlrev_b32_e32 v16, 5, v58
	v_lshl_add_u64 v[66:67], v[156:157], 0, s[0:1]
	s_mov_b64 s[0:1], 0xe0
	v_fma_f64 v[92:93], v[92:93], 2.0, -v[100:101]
	v_fma_f64 v[94:95], v[94:95], 2.0, -v[102:103]
	v_add_f64 v[88:89], v[80:81], -v[88:89]
	v_add_f64 v[90:91], v[82:83], -v[90:91]
	ds_write_b128 v16, v[96:99]
	v_accvgpr_write_b32 a89, v16
	ds_write_b128 v16, v[76:79] offset:16
	v_lshlrev_b32_e32 v16, 5, v56
	v_lshl_add_u64 v[64:65], v[156:157], 0, s[0:1]
	s_mov_b64 s[0:1], 0x118
	v_fma_f64 v[80:81], v[80:81], 2.0, -v[88:89]
	v_fma_f64 v[82:83], v[82:83], 2.0, -v[90:91]
	v_add_f64 v[84:85], v[48:49], -v[84:85]
	v_add_f64 v[86:87], v[50:51], -v[86:87]
	ds_write_b128 v16, v[92:95]
	v_accvgpr_write_b32 a90, v16
	ds_write_b128 v16, v[100:103] offset:16
	v_lshlrev_b32_e32 v16, 5, v66
	v_lshl_add_u64 v[62:63], v[156:157], 0, s[0:1]
	s_mov_b64 s[0:1], 0x150
	v_lshlrev_b32_e32 v57, 1, v156
	v_fma_f64 v[48:49], v[48:49], 2.0, -v[84:85]
	v_fma_f64 v[50:51], v[50:51], 2.0, -v[86:87]
	v_add_f64 v[44:45], v[36:37], -v[44:45]
	v_add_f64 v[46:47], v[38:39], -v[46:47]
	ds_write_b128 v16, v[80:83]
	v_accvgpr_write_b32 a91, v16
	ds_write_b128 v16, v[88:91] offset:16
	v_lshlrev_b32_e32 v16, 5, v64
	v_lshl_add_u64 v[60:61], v[156:157], 0, s[0:1]
	v_fma_f64 v[36:37], v[36:37], 2.0, -v[44:45]
	v_fma_f64 v[38:39], v[38:39], 2.0, -v[46:47]
	v_add_f64 v[40:41], v[32:33], -v[40:41]
	v_add_f64 v[42:43], v[34:35], -v[42:43]
	ds_write_b128 v16, v[48:51]
	v_accvgpr_write_b32 a93, v16
	ds_write_b128 v16, v[84:87] offset:16
	v_lshlrev_b32_e32 v16, 5, v62
	v_add_u32_e32 v54, 0x310, v57
	v_fma_f64 v[32:33], v[32:33], 2.0, -v[40:41]
	v_fma_f64 v[34:35], v[34:35], 2.0, -v[42:43]
	v_add_f64 v[28:29], v[20:21], -v[28:29]
	v_add_f64 v[30:31], v[22:23], -v[30:31]
	ds_write_b128 v16, v[36:39]
	v_accvgpr_write_b32 a94, v16
	ds_write_b128 v16, v[44:47] offset:16
	v_lshlrev_b32_e32 v16, 5, v60
	v_lshlrev_b32_e32 v17, 4, v54
	v_add_f64 v[24:25], v[12:13], -v[24:25]
	v_add_f64 v[26:27], v[14:15], -v[26:27]
	ds_write_b128 v16, v[32:35]
	ds_write_b128 v16, v[40:43] offset:16
	v_accvgpr_write_b32 a96, v17
	ds_write_b128 v17, v[28:31] offset:16
	v_accvgpr_read_b32 v17, a3
	s_mov_b64 s[0:1], 0x230
	v_fma_f64 v[20:21], v[20:21], 2.0, -v[28:29]
	v_fma_f64 v[22:23], v[22:23], 2.0, -v[30:31]
	;; [unrolled: 1-line block ×4, first 2 shown]
	v_accvgpr_write_b32 a95, v16
	v_lshlrev_b32_e32 v16, 4, v57
	v_lshlrev_b32_e32 v61, 1, v17
	;; [unrolled: 1-line block ×3, first 2 shown]
	v_add_u32_e32 v55, 0x3f0, v57
	v_lshl_add_u64 v[68:69], v[156:157], 0, s[0:1]
	v_add_f64 v[10:11], v[6:7], -v[10:11]
	ds_write_b128 v16, v[20:23] offset:12544
	ds_write_b128 v17, v[12:15]
	v_lshlrev_b32_e32 v12, 4, v55
	v_fma_f64 v[106:107], v[6:7], 2.0, -v[10:11]
	v_add_f64 v[6:7], v[2:3], -v[18:19]
	ds_write_b128 v17, v[24:27] offset:16
	ds_write_b128 v12, v[8:11] offset:16
	v_lshlrev_b32_e32 v8, 5, v68
	v_fma_f64 v[0:1], v[0:1], 2.0, -v[4:5]
	v_fma_f64 v[2:3], v[2:3], 2.0, -v[6:7]
	v_lshlrev_b32_e32 v67, 1, v58
	v_lshlrev_b32_e32 v63, 1, v56
	;; [unrolled: 1-line block ×6, first 2 shown]
	v_accvgpr_write_b32 a97, v17
	v_accvgpr_write_b32 a98, v12
	;; [unrolled: 1-line block ×3, first 2 shown]
	ds_write_b128 v16, v[104:107] offset:16128
	s_and_saveexec_b64 s[0:1], s[2:3]
	s_cbranch_execz .LBB0_7
; %bb.6:
	v_accvgpr_read_b32 v8, a92
	ds_write_b128 v8, v[0:3]
	ds_write_b128 v8, v[4:7] offset:16
.LBB0_7:
	s_or_b64 exec, exec, s[0:1]
	s_waitcnt lgkmcnt(0)
	; wave barrier
	s_waitcnt lgkmcnt(0)
	ds_read_b128 v[8:11], v74
	ds_read_b128 v[12:15], v74 offset:896
	ds_read_b128 v[80:83], v74 offset:9408
	ds_read_b128 v[48:51], v74 offset:10304
	ds_read_b128 v[20:23], v74 offset:1792
	ds_read_b128 v[24:27], v74 offset:2688
	ds_read_b128 v[92:95], v74 offset:11200
	ds_read_b128 v[88:91], v74 offset:12096
	ds_read_b128 v[28:31], v74 offset:3584
	ds_read_b128 v[32:35], v74 offset:4480
	ds_read_b128 v[100:103], v74 offset:12992
	ds_read_b128 v[96:99], v74 offset:13888
	ds_read_b128 v[36:39], v74 offset:5376
	ds_read_b128 v[40:43], v74 offset:6272
	ds_read_b128 v[108:111], v74 offset:14784
	ds_read_b128 v[104:107], v74 offset:15680
	ds_read_b128 v[44:47], v74 offset:7168
	ds_read_b128 v[16:19], v74 offset:8064
	ds_read_b128 v[116:119], v74 offset:16576
	ds_read_b128 v[112:115], v74 offset:17472
	s_and_saveexec_b64 s[0:1], s[2:3]
	s_cbranch_execz .LBB0_9
; %bb.8:
	ds_read_b128 v[0:3], v74 offset:8960
	ds_read_b128 v[4:7], v74 offset:18368
.LBB0_9:
	s_or_b64 exec, exec, s[0:1]
	v_and_b32_e32 v75, 1, v156
	v_lshlrev_b32_e32 v69, 4, v75
	global_load_dwordx4 v[84:87], v69, s[8:9]
	s_movk_i32 s0, 0x7c
	v_and_or_b32 v69, v57, s0, v75
	v_lshlrev_b32_e32 v69, 4, v69
	s_movk_i32 s0, 0xfc
	s_waitcnt lgkmcnt(0)
	; wave barrier
	s_waitcnt lgkmcnt(0)
	s_movk_i32 s1, 0x2fc
	v_accvgpr_write_b32 a99, v69
	v_accvgpr_write_b32 a86, v75
	s_waitcnt vmcnt(0)
	v_mul_f64 v[70:71], v[82:83], v[86:87]
	v_mul_f64 v[72:73], v[80:81], v[86:87]
	;; [unrolled: 1-line block ×10, first 2 shown]
	v_fma_f64 v[70:71], v[80:81], v[84:85], -v[70:71]
	v_fmac_f64_e32 v[72:73], v[82:83], v[84:85]
	v_mul_f64 v[120:121], v[94:95], v[86:87]
	v_mul_f64 v[126:127], v[88:89], v[86:87]
	;; [unrolled: 1-line block ×6, first 2 shown]
	v_fma_f64 v[48:49], v[48:49], v[84:85], -v[76:77]
	v_fmac_f64_e32 v[78:79], v[50:51], v[84:85]
	v_fma_f64 v[80:81], v[88:89], v[84:85], -v[124:125]
	v_fma_f64 v[88:89], v[96:97], v[84:85], -v[132:133]
	;; [unrolled: 1-line block ×5, first 2 shown]
	v_fmac_f64_e32 v[154:155], v[6:7], v[84:85]
	v_add_f64 v[4:5], v[8:9], -v[70:71]
	v_add_f64 v[6:7], v[10:11], -v[72:73]
	v_mul_f64 v[122:123], v[92:93], v[86:87]
	v_mul_f64 v[138:139], v[108:109], v[86:87]
	v_fma_f64 v[76:77], v[92:93], v[84:85], -v[120:121]
	v_fma_f64 v[92:93], v[108:109], v[84:85], -v[136:137]
	v_add_f64 v[48:49], v[12:13], -v[48:49]
	v_add_f64 v[50:51], v[14:15], -v[78:79]
	v_fma_f64 v[108:109], v[8:9], 2.0, -v[4:5]
	ds_write_b128 v69, v[4:7] offset:32
	v_and_or_b32 v4, v67, s0, v75
	v_fmac_f64_e32 v[122:123], v[94:95], v[84:85]
	v_fmac_f64_e32 v[138:139], v[110:111], v[84:85]
	v_fma_f64 v[110:111], v[10:11], 2.0, -v[6:7]
	v_fma_f64 v[12:13], v[12:13], 2.0, -v[48:49]
	;; [unrolled: 1-line block ×3, first 2 shown]
	v_lshlrev_b32_e32 v4, 4, v4
	s_movk_i32 s0, 0x1fc
	v_add_f64 v[70:71], v[20:21], -v[76:77]
	v_add_f64 v[72:73], v[22:23], -v[122:123]
	ds_write_b128 v69, v[108:111]
	ds_write_b128 v4, v[12:15]
	v_accvgpr_write_b32 a100, v4
	ds_write_b128 v4, v[48:51] offset:32
	v_and_or_b32 v4, v63, s0, v75
	v_fmac_f64_e32 v[126:127], v[90:91], v[84:85]
	v_fma_f64 v[20:21], v[20:21], 2.0, -v[70:71]
	v_fma_f64 v[22:23], v[22:23], 2.0, -v[72:73]
	v_lshlrev_b32_e32 v4, 4, v4
	v_mul_f64 v[128:129], v[102:103], v[86:87]
	v_mul_f64 v[130:131], v[100:101], v[86:87]
	v_add_f64 v[76:77], v[24:25], -v[80:81]
	v_add_f64 v[78:79], v[26:27], -v[126:127]
	ds_write_b128 v4, v[20:23]
	v_accvgpr_write_b32 a101, v4
	ds_write_b128 v4, v[70:73] offset:32
	v_and_or_b32 v4, v65, s0, v75
	v_fma_f64 v[82:83], v[100:101], v[84:85], -v[128:129]
	v_fmac_f64_e32 v[130:131], v[102:103], v[84:85]
	v_fma_f64 v[24:25], v[24:25], 2.0, -v[76:77]
	v_fma_f64 v[26:27], v[26:27], 2.0, -v[78:79]
	v_lshlrev_b32_e32 v4, 4, v4
	s_movk_i32 s0, 0x3fc
	v_add_f64 v[80:81], v[28:29], -v[82:83]
	v_add_f64 v[82:83], v[30:31], -v[130:131]
	ds_write_b128 v4, v[24:27]
	v_accvgpr_write_b32 a102, v4
	ds_write_b128 v4, v[76:79] offset:32
	v_and_or_b32 v4, v59, s0, v75
	v_fmac_f64_e32 v[134:135], v[98:99], v[84:85]
	v_fma_f64 v[28:29], v[28:29], 2.0, -v[80:81]
	v_fma_f64 v[30:31], v[30:31], 2.0, -v[82:83]
	v_lshlrev_b32_e32 v4, 4, v4
	v_add_f64 v[88:89], v[32:33], -v[88:89]
	v_add_f64 v[90:91], v[34:35], -v[134:135]
	ds_write_b128 v4, v[28:31]
	v_accvgpr_write_b32 a103, v4
	ds_write_b128 v4, v[80:83] offset:32
	v_and_or_b32 v4, v52, s1, v75
	v_fma_f64 v[32:33], v[32:33], 2.0, -v[88:89]
	v_fma_f64 v[34:35], v[34:35], 2.0, -v[90:91]
	v_lshlrev_b32_e32 v4, 4, v4
	v_add_f64 v[92:93], v[36:37], -v[92:93]
	v_add_f64 v[94:95], v[38:39], -v[138:139]
	ds_write_b128 v4, v[32:35]
	v_accvgpr_write_b32 a104, v4
	ds_write_b128 v4, v[88:91] offset:32
	v_and_or_b32 v4, v53, s0, v75
	v_fmac_f64_e32 v[142:143], v[106:107], v[84:85]
	v_fma_f64 v[36:37], v[36:37], 2.0, -v[92:93]
	v_fma_f64 v[38:39], v[38:39], 2.0, -v[94:95]
	v_lshlrev_b32_e32 v4, 4, v4
	v_mul_f64 v[144:145], v[118:119], v[86:87]
	v_mul_f64 v[146:147], v[116:117], v[86:87]
	v_add_f64 v[96:97], v[40:41], -v[96:97]
	v_add_f64 v[98:99], v[42:43], -v[142:143]
	ds_write_b128 v4, v[36:39]
	v_accvgpr_write_b32 a105, v4
	ds_write_b128 v4, v[92:95] offset:32
	v_and_or_b32 v4, v54, s0, v75
	v_fma_f64 v[100:101], v[116:117], v[84:85], -v[144:145]
	v_fmac_f64_e32 v[146:147], v[118:119], v[84:85]
	v_fma_f64 v[40:41], v[40:41], 2.0, -v[96:97]
	v_fma_f64 v[42:43], v[42:43], 2.0, -v[98:99]
	v_lshlrev_b32_e32 v4, 4, v4
	v_add_f64 v[100:101], v[44:45], -v[100:101]
	v_add_f64 v[102:103], v[46:47], -v[146:147]
	ds_write_b128 v4, v[40:43]
	v_accvgpr_write_b32 a106, v4
	ds_write_b128 v4, v[96:99] offset:32
	v_and_or_b32 v4, v61, s0, v75
	v_fmac_f64_e32 v[150:151], v[114:115], v[84:85]
	v_fma_f64 v[44:45], v[44:45], 2.0, -v[100:101]
	v_fma_f64 v[46:47], v[46:47], 2.0, -v[102:103]
	v_lshlrev_b32_e32 v4, 4, v4
	s_movk_i32 s0, 0x7fc
	v_add_f64 v[104:105], v[16:17], -v[104:105]
	v_add_f64 v[106:107], v[18:19], -v[150:151]
	ds_write_b128 v4, v[44:47]
	v_accvgpr_write_b32 a107, v4
	ds_write_b128 v4, v[100:103] offset:32
	v_and_or_b32 v4, v55, s0, v75
	v_fma_f64 v[16:17], v[16:17], 2.0, -v[104:105]
	v_fma_f64 v[18:19], v[18:19], 2.0, -v[106:107]
	v_lshlrev_b32_e32 v4, 4, v4
	v_add_f64 v[8:9], v[0:1], -v[112:113]
	v_add_f64 v[10:11], v[2:3], -v[154:155]
	ds_write_b128 v4, v[16:19]
	v_accvgpr_write_b32 a108, v4
	ds_write_b128 v4, v[104:107] offset:32
	v_lshlrev_b32_e32 v4, 1, v68
	v_fma_f64 v[0:1], v[0:1], 2.0, -v[8:9]
	v_fma_f64 v[2:3], v[2:3], 2.0, -v[10:11]
	v_accvgpr_write_b32 a9, v4
	s_and_saveexec_b64 s[0:1], s[2:3]
	s_cbranch_execz .LBB0_11
; %bb.10:
	s_movk_i32 s14, 0x4fc
	v_accvgpr_read_b32 v4, a9
	v_accvgpr_read_b32 v5, a86
	v_and_or_b32 v4, v4, s14, v5
	v_lshlrev_b32_e32 v4, 4, v4
	ds_write_b128 v4, v[0:3]
	ds_write_b128 v4, v[8:11] offset:32
.LBB0_11:
	s_or_b64 exec, exec, s[0:1]
	s_waitcnt lgkmcnt(0)
	; wave barrier
	s_waitcnt lgkmcnt(0)
	ds_read_b128 v[44:47], v74
	ds_read_b128 v[40:43], v74 offset:896
	ds_read_b128 v[120:123], v74 offset:9408
	;; [unrolled: 1-line block ×19, first 2 shown]
	s_and_saveexec_b64 s[0:1], s[2:3]
	s_cbranch_execz .LBB0_13
; %bb.12:
	ds_read_b128 v[0:3], v74 offset:8960
	ds_read_b128 v[8:11], v74 offset:18368
.LBB0_13:
	s_or_b64 exec, exec, s[0:1]
	v_and_b32_e32 v75, 3, v156
	v_lshlrev_b32_e32 v68, 4, v75
	global_load_dwordx4 v[80:83], v68, s[8:9] offset:32
	s_movk_i32 s0, 0x78
	s_waitcnt lgkmcnt(0)
	; wave barrier
	s_waitcnt lgkmcnt(0)
	s_movk_i32 s1, 0x2f8
	v_accvgpr_write_b32 a87, v75
	s_waitcnt vmcnt(0)
	v_mul_f64 v[72:73], v[118:119], v[82:83]
	v_mul_f64 v[76:77], v[114:115], v[82:83]
	v_fma_f64 v[72:73], v[116:117], v[80:81], -v[72:73]
	v_mul_f64 v[78:79], v[116:117], v[82:83]
	v_fma_f64 v[116:117], v[112:113], v[80:81], -v[76:77]
	v_mul_f64 v[112:113], v[112:113], v[82:83]
	v_mul_f64 v[76:77], v[110:111], v[82:83]
	v_fmac_f64_e32 v[112:113], v[114:115], v[80:81]
	v_fma_f64 v[114:115], v[108:109], v[80:81], -v[76:77]
	v_mul_f64 v[108:109], v[108:109], v[82:83]
	v_mul_f64 v[76:77], v[106:107], v[82:83]
	v_fmac_f64_e32 v[108:109], v[110:111], v[80:81]
	v_fma_f64 v[110:111], v[104:105], v[80:81], -v[76:77]
	v_mul_f64 v[104:105], v[104:105], v[82:83]
	v_mul_f64 v[76:77], v[102:103], v[82:83]
	;; [unrolled: 1-line block ×3, first 2 shown]
	v_fmac_f64_e32 v[104:105], v[106:107], v[80:81]
	v_fma_f64 v[106:107], v[100:101], v[80:81], -v[76:77]
	v_mul_f64 v[76:77], v[98:99], v[82:83]
	v_fma_f64 v[68:69], v[120:121], v[80:81], -v[68:69]
	v_mul_f64 v[70:71], v[120:121], v[82:83]
	;; [unrolled: 2-line block ×6, first 2 shown]
	v_mul_f64 v[48:49], v[10:11], v[82:83]
	v_fma_f64 v[48:49], v[8:9], v[80:81], -v[48:49]
	v_mul_f64 v[8:9], v[8:9], v[82:83]
	v_fmac_f64_e32 v[70:71], v[122:123], v[80:81]
	v_fmac_f64_e32 v[8:9], v[10:11], v[80:81]
	;; [unrolled: 1-line block ×3, first 2 shown]
	v_add_f64 v[68:69], v[44:45], -v[68:69]
	v_add_f64 v[70:71], v[46:47], -v[70:71]
	;; [unrolled: 1-line block ×3, first 2 shown]
	v_and_or_b32 v8, v57, s0, v75
	v_fmac_f64_e32 v[78:79], v[118:119], v[80:81]
	v_fma_f64 v[44:45], v[44:45], 2.0, -v[68:69]
	v_fma_f64 v[46:47], v[46:47], 2.0, -v[70:71]
	v_lshlrev_b32_e32 v8, 4, v8
	s_movk_i32 s0, 0xf8
	v_add_f64 v[76:77], v[40:41], -v[72:73]
	v_add_f64 v[78:79], v[42:43], -v[78:79]
	ds_write_b128 v8, v[44:47]
	v_accvgpr_write_b32 a109, v8
	ds_write_b128 v8, v[68:71] offset:64
	v_and_or_b32 v8, v67, s0, v75
	v_mul_f64 v[130:131], v[88:89], v[82:83]
	v_fma_f64 v[40:41], v[40:41], 2.0, -v[76:77]
	v_fma_f64 v[42:43], v[42:43], 2.0, -v[78:79]
	v_lshlrev_b32_e32 v8, 4, v8
	s_movk_i32 s0, 0x1f8
	v_fmac_f64_e32 v[130:131], v[90:91], v[80:81]
	v_add_f64 v[88:89], v[36:37], -v[116:117]
	v_add_f64 v[90:91], v[38:39], -v[112:113]
	ds_write_b128 v8, v[40:43]
	v_accvgpr_write_b32 a110, v8
	ds_write_b128 v8, v[76:79] offset:64
	v_and_or_b32 v8, v63, s0, v75
	v_mul_f64 v[126:127], v[92:93], v[82:83]
	v_fma_f64 v[36:37], v[36:37], 2.0, -v[88:89]
	v_fma_f64 v[38:39], v[38:39], 2.0, -v[90:91]
	v_lshlrev_b32_e32 v8, 4, v8
	v_fmac_f64_e32 v[126:127], v[94:95], v[80:81]
	v_add_f64 v[92:93], v[32:33], -v[114:115]
	v_add_f64 v[94:95], v[34:35], -v[108:109]
	ds_write_b128 v8, v[36:39]
	v_accvgpr_write_b32 a111, v8
	ds_write_b128 v8, v[88:91] offset:64
	v_and_or_b32 v8, v65, s0, v75
	v_mul_f64 v[122:123], v[96:97], v[82:83]
	v_fma_f64 v[32:33], v[32:33], 2.0, -v[92:93]
	v_fma_f64 v[34:35], v[34:35], 2.0, -v[94:95]
	v_lshlrev_b32_e32 v8, 4, v8
	s_movk_i32 s0, 0x3f8
	v_mul_f64 v[118:119], v[100:101], v[82:83]
	v_fmac_f64_e32 v[122:123], v[98:99], v[80:81]
	v_add_f64 v[96:97], v[28:29], -v[110:111]
	v_add_f64 v[98:99], v[30:31], -v[104:105]
	ds_write_b128 v8, v[32:35]
	v_accvgpr_write_b32 a112, v8
	ds_write_b128 v8, v[92:95] offset:64
	v_and_or_b32 v8, v59, s0, v75
	v_fmac_f64_e32 v[118:119], v[102:103], v[80:81]
	v_fma_f64 v[28:29], v[28:29], 2.0, -v[96:97]
	v_fma_f64 v[30:31], v[30:31], 2.0, -v[98:99]
	v_lshlrev_b32_e32 v8, 4, v8
	v_add_f64 v[100:101], v[24:25], -v[106:107]
	v_add_f64 v[102:103], v[26:27], -v[118:119]
	ds_write_b128 v8, v[28:31]
	v_accvgpr_write_b32 a113, v8
	ds_write_b128 v8, v[96:99] offset:64
	v_and_or_b32 v8, v52, s1, v75
	v_fma_f64 v[24:25], v[24:25], 2.0, -v[100:101]
	v_fma_f64 v[26:27], v[26:27], 2.0, -v[102:103]
	v_lshlrev_b32_e32 v8, 4, v8
	v_add_f64 v[104:105], v[20:21], -v[120:121]
	v_add_f64 v[106:107], v[22:23], -v[122:123]
	ds_write_b128 v8, v[24:27]
	v_accvgpr_write_b32 a114, v8
	ds_write_b128 v8, v[100:103] offset:64
	v_and_or_b32 v8, v53, s0, v75
	;; [unrolled: 9-line block ×4, first 2 shown]
	v_fma_f64 v[10:11], v[12:13], 2.0, -v[112:113]
	v_fma_f64 v[12:13], v[14:15], 2.0, -v[114:115]
	v_lshlrev_b32_e32 v8, 4, v8
	s_movk_i32 s0, 0x7f8
	ds_write_b128 v8, v[10:13]
	v_accvgpr_write_b32 a117, v8
	ds_write_b128 v8, v[112:115] offset:64
	v_and_or_b32 v8, v55, s0, v75
	v_add_f64 v[116:117], v[4:5], -v[132:133]
	v_add_f64 v[118:119], v[6:7], -v[134:135]
	;; [unrolled: 1-line block ×3, first 2 shown]
	v_accvgpr_write_b32 a151, v51
	v_lshlrev_b32_e32 v8, 4, v8
	v_fma_f64 v[4:5], v[4:5], 2.0, -v[116:117]
	v_fma_f64 v[6:7], v[6:7], 2.0, -v[118:119]
	v_accvgpr_write_b32 a150, v50
	v_accvgpr_write_b32 a149, v49
	;; [unrolled: 1-line block ×4, first 2 shown]
	ds_write_b128 v8, v[4:7]
	ds_write_b128 v8, v[116:119] offset:64
	s_and_saveexec_b64 s[0:1], s[2:3]
	s_cbranch_execz .LBB0_15
; %bb.14:
	v_accvgpr_read_b32 v6, a148
	s_movk_i32 s14, 0x4f8
	v_accvgpr_read_b32 v4, a9
	v_accvgpr_read_b32 v5, a87
	;; [unrolled: 1-line block ×5, first 2 shown]
	v_and_or_b32 v4, v4, s14, v5
	v_fma_f64 v[2:3], v[2:3], 2.0, -v[8:9]
	v_fma_f64 v[0:1], v[0:1], 2.0, -v[6:7]
	v_lshlrev_b32_e32 v4, 4, v4
	ds_write_b128 v4, v[0:3]
	ds_write_b128 v4, a[148:151] offset:64
.LBB0_15:
	s_or_b64 exec, exec, s[0:1]
	v_and_b32_e32 v57, 7, v156
	v_lshlrev_b32_e32 v52, 5, v57
	s_waitcnt lgkmcnt(0)
	; wave barrier
	s_waitcnt lgkmcnt(0)
	ds_read_b128 v[96:99], v74
	ds_read_b128 v[124:127], v74 offset:6272
	ds_read_b128 v[120:123], v74 offset:12544
	;; [unrolled: 1-line block ×20, first 2 shown]
	global_load_dwordx4 v[88:91], v52, s[8:9] offset:112
	global_load_dwordx4 v[92:95], v52, s[8:9] offset:96
	s_add_u32 s0, s12, 0x4980
	s_addc_u32 s1, s13, 0
	s_mov_b32 s12, 0xe8584caa
	s_mov_b32 s13, 0x3febb67a
	;; [unrolled: 1-line block ×4, first 2 shown]
	s_waitcnt lgkmcnt(0)
	; wave barrier
	s_waitcnt lgkmcnt(0)
	s_movk_i32 s30, 0x60
	s_mov_b32 s26, 0x37e14327
	s_mov_b32 s28, 0xe976ee23
	;; [unrolled: 1-line block ×14, first 2 shown]
	s_waitcnt vmcnt(1)
	v_mul_f64 v[130:131], v[120:121], v[90:91]
	s_waitcnt vmcnt(0)
	v_mul_f64 v[52:53], v[126:127], v[94:95]
	v_fma_f64 v[128:129], v[124:125], v[92:93], -v[52:53]
	v_mul_f64 v[124:125], v[124:125], v[94:95]
	v_mul_f64 v[52:53], v[122:123], v[90:91]
	v_fmac_f64_e32 v[124:125], v[126:127], v[92:93]
	v_fma_f64 v[126:127], v[120:121], v[88:89], -v[52:53]
	v_mul_f64 v[52:53], v[118:119], v[94:95]
	v_fma_f64 v[76:77], v[116:117], v[92:93], -v[52:53]
	v_mul_f64 v[116:117], v[116:117], v[94:95]
	v_mul_f64 v[52:53], v[114:115], v[90:91]
	v_fmac_f64_e32 v[116:117], v[118:119], v[92:93]
	v_fma_f64 v[118:119], v[112:113], v[88:89], -v[52:53]
	v_mul_f64 v[52:53], v[110:111], v[94:95]
	v_fma_f64 v[68:69], v[108:109], v[92:93], -v[52:53]
	v_mul_f64 v[52:53], v[106:107], v[90:91]
	v_mul_f64 v[72:73], v[108:109], v[94:95]
	v_fma_f64 v[108:109], v[104:105], v[88:89], -v[52:53]
	v_mul_f64 v[52:53], v[50:51], v[94:95]
	v_fma_f64 v[52:53], v[48:49], v[92:93], -v[52:53]
	v_mul_f64 v[54:55], v[48:49], v[94:95]
	v_mul_f64 v[48:49], v[102:103], v[90:91]
	v_fma_f64 v[70:71], v[100:101], v[88:89], -v[48:49]
	v_mul_f64 v[48:49], v[46:47], v[94:95]
	v_fma_f64 v[48:49], v[44:45], v[92:93], -v[48:49]
	v_mul_f64 v[44:45], v[44:45], v[94:95]
	v_fmac_f64_e32 v[44:45], v[46:47], v[92:93]
	v_mul_f64 v[46:47], v[42:43], v[90:91]
	v_fmac_f64_e32 v[54:55], v[50:51], v[92:93]
	v_fma_f64 v[46:47], v[40:41], v[88:89], -v[46:47]
	v_mul_f64 v[50:51], v[40:41], v[90:91]
	v_mul_f64 v[40:41], v[38:39], v[94:95]
	v_fma_f64 v[40:41], v[36:37], v[92:93], -v[40:41]
	v_mul_f64 v[36:37], v[36:37], v[94:95]
	v_fmac_f64_e32 v[36:37], v[38:39], v[92:93]
	v_mul_f64 v[38:39], v[34:35], v[90:91]
	v_fmac_f64_e32 v[50:51], v[42:43], v[88:89]
	v_fma_f64 v[38:39], v[32:33], v[88:89], -v[38:39]
	v_mul_f64 v[42:43], v[32:33], v[90:91]
	v_mul_f64 v[32:33], v[30:31], v[94:95]
	v_fma_f64 v[32:33], v[28:29], v[92:93], -v[32:33]
	v_mul_f64 v[28:29], v[28:29], v[94:95]
	v_fmac_f64_e32 v[28:29], v[30:31], v[92:93]
	v_mul_f64 v[30:31], v[26:27], v[90:91]
	v_fma_f64 v[30:31], v[24:25], v[88:89], -v[30:31]
	v_mul_f64 v[24:25], v[24:25], v[90:91]
	v_fmac_f64_e32 v[24:25], v[26:27], v[88:89]
	v_add_f64 v[26:27], v[96:97], v[128:129]
	v_fmac_f64_e32 v[130:131], v[122:123], v[88:89]
	v_mul_f64 v[78:79], v[100:101], v[90:91]
	v_add_f64 v[100:101], v[26:27], v[126:127]
	v_add_f64 v[26:27], v[128:129], v[126:127]
	v_fmac_f64_e32 v[96:97], -0.5, v[26:27]
	v_add_f64 v[26:27], v[124:125], -v[130:131]
	v_fma_f64 v[120:121], s[12:13], v[26:27], v[96:97]
	v_fmac_f64_e32 v[96:97], s[14:15], v[26:27]
	v_add_f64 v[26:27], v[98:99], v[124:125]
	v_fmac_f64_e32 v[78:79], v[102:103], v[88:89]
	v_add_f64 v[102:103], v[26:27], v[130:131]
	v_add_f64 v[26:27], v[124:125], v[130:131]
	v_fmac_f64_e32 v[98:99], -0.5, v[26:27]
	v_add_f64 v[26:27], v[128:129], -v[126:127]
	v_mul_f64 v[112:113], v[112:113], v[90:91]
	v_fma_f64 v[122:123], s[14:15], v[26:27], v[98:99]
	v_fmac_f64_e32 v[98:99], s[12:13], v[26:27]
	v_add_f64 v[26:27], v[20:21], v[76:77]
	v_fmac_f64_e32 v[112:113], v[114:115], v[88:89]
	v_add_f64 v[124:125], v[26:27], v[118:119]
	v_add_f64 v[26:27], v[76:77], v[118:119]
	v_fmac_f64_e32 v[20:21], -0.5, v[26:27]
	v_add_f64 v[26:27], v[116:117], -v[112:113]
	v_fmac_f64_e32 v[72:73], v[110:111], v[92:93]
	v_fma_f64 v[110:111], s[12:13], v[26:27], v[20:21]
	v_fmac_f64_e32 v[20:21], s[14:15], v[26:27]
	v_add_f64 v[26:27], v[22:23], v[116:117]
	v_add_f64 v[126:127], v[26:27], v[112:113]
	;; [unrolled: 1-line block ×3, first 2 shown]
	v_fmac_f64_e32 v[22:23], -0.5, v[26:27]
	v_add_f64 v[26:27], v[76:77], -v[118:119]
	v_mul_f64 v[104:105], v[104:105], v[90:91]
	v_fma_f64 v[112:113], s[14:15], v[26:27], v[22:23]
	v_fmac_f64_e32 v[22:23], s[12:13], v[26:27]
	v_add_f64 v[26:27], v[16:17], v[68:69]
	v_fmac_f64_e32 v[104:105], v[106:107], v[88:89]
	v_add_f64 v[114:115], v[26:27], v[108:109]
	v_add_f64 v[26:27], v[68:69], v[108:109]
	v_fmac_f64_e32 v[16:17], -0.5, v[26:27]
	v_add_f64 v[26:27], v[72:73], -v[104:105]
	v_fma_f64 v[106:107], s[12:13], v[26:27], v[16:17]
	v_fmac_f64_e32 v[16:17], s[14:15], v[26:27]
	v_add_f64 v[26:27], v[18:19], v[72:73]
	v_add_f64 v[116:117], v[26:27], v[104:105]
	v_add_f64 v[26:27], v[72:73], v[104:105]
	v_fmac_f64_e32 v[18:19], -0.5, v[26:27]
	v_add_f64 v[26:27], v[68:69], -v[108:109]
	v_fma_f64 v[108:109], s[14:15], v[26:27], v[18:19]
	v_fmac_f64_e32 v[18:19], s[12:13], v[26:27]
	v_add_f64 v[26:27], v[12:13], v[52:53]
	;; [unrolled: 7-line block ×6, first 2 shown]
	v_fmac_f64_e32 v[42:43], v[34:35], v[88:89]
	v_add_f64 v[44:45], v[26:27], v[38:39]
	v_add_f64 v[26:27], v[40:41], v[38:39]
	v_fmac_f64_e32 v[4:5], -0.5, v[26:27]
	v_add_f64 v[26:27], v[36:37], -v[42:43]
	v_fma_f64 v[34:35], s[12:13], v[26:27], v[4:5]
	v_fmac_f64_e32 v[4:5], s[14:15], v[26:27]
	v_add_f64 v[26:27], v[6:7], v[36:37]
	v_add_f64 v[46:47], v[26:27], v[42:43]
	v_add_f64 v[26:27], v[36:37], v[42:43]
	v_fmac_f64_e32 v[6:7], -0.5, v[26:27]
	v_add_f64 v[26:27], v[40:41], -v[38:39]
	v_fma_f64 v[36:37], s[14:15], v[26:27], v[6:7]
	v_fmac_f64_e32 v[6:7], s[12:13], v[26:27]
	v_add_f64 v[26:27], v[0:1], v[32:33]
	;; [unrolled: 7-line block ×3, first 2 shown]
	v_add_f64 v[40:41], v[40:41], v[24:25]
	v_add_f64 v[24:25], v[28:29], v[24:25]
	v_fmac_f64_e32 v[2:3], -0.5, v[24:25]
	v_add_f64 v[24:25], v[32:33], -v[30:31]
	v_fma_f64 v[28:29], s[14:15], v[24:25], v[2:3]
	v_fmac_f64_e32 v[2:3], s[12:13], v[24:25]
	v_lshrrev_b32_e32 v24, 3, v156
	v_mul_u32_u24_e32 v24, 24, v24
	v_or_b32_e32 v24, v24, v57
	v_lshlrev_b32_e32 v24, 4, v24
	ds_write_b128 v24, v[100:103]
	ds_write_b128 v24, v[120:123] offset:128
	v_accvgpr_write_b32 a137, v24
	ds_write_b128 v24, v[96:99] offset:256
	v_lshrrev_b32_e32 v24, 3, v58
	v_mul_u32_u24_e32 v24, 24, v24
	v_or_b32_e32 v24, v24, v57
	v_lshlrev_b32_e32 v24, 4, v24
	ds_write_b128 v24, v[124:127]
	ds_write_b128 v24, v[110:113] offset:128
	ds_write_b128 v24, v[20:23] offset:256
	v_lshrrev_b32_e32 v20, 3, v56
	v_mul_u32_u24_e32 v20, 24, v20
	v_or_b32_e32 v20, v20, v57
	v_lshlrev_b32_e32 v20, 4, v20
	ds_write_b128 v20, v[114:117]
	ds_write_b128 v20, v[106:109] offset:128
	ds_write_b128 v20, v[16:19] offset:256
	v_lshrrev_b32_e32 v16, 3, v66
	v_mul_u32_u24_e32 v16, 24, v16
	v_or_b32_e32 v16, v16, v57
	v_lshlrev_b32_e32 v16, 4, v16
	ds_write_b128 v16, v[128:131]
	ds_write_b128 v16, v[68:71] offset:128
	ds_write_b128 v16, v[12:15] offset:256
	v_lshrrev_b32_e32 v12, 3, v64
	v_mul_u32_u24_e32 v12, 24, v12
	v_or_b32_e32 v12, v12, v57
	v_lshlrev_b32_e32 v12, 4, v12
	ds_write_b128 v12, v[52:55]
	ds_write_b128 v12, v[76:79] offset:128
	ds_write_b128 v12, v[8:11] offset:256
	v_lshrrev_b32_e32 v8, 3, v62
	v_mul_u32_u24_e32 v8, 24, v8
	s_movk_i32 s12, 0xab
	v_or_b32_e32 v8, v8, v57
	v_mul_lo_u16_sdwa v52, v156, s12 dst_sel:DWORD dst_unused:UNUSED_PAD src0_sel:BYTE_0 src1_sel:DWORD
	v_lshlrev_b32_e32 v8, 4, v8
	v_lshrrev_b16_e32 v75, 12, v52
	ds_write_b128 v8, v[44:47]
	ds_write_b128 v8, v[34:37] offset:128
	ds_write_b128 v8, v[4:7] offset:256
	v_lshrrev_b32_e32 v4, 3, v60
	v_mul_lo_u16_e32 v52, 24, v75
	v_mul_u32_u24_e32 v4, 24, v4
	v_sub_u16_e32 v52, v156, v52
	v_or_b32_e32 v4, v4, v57
	v_and_b32_e32 v184, 0xff, v52
	v_mov_b64_e32 v[54:55], s[8:9]
	v_lshlrev_b32_e32 v4, 4, v4
	v_mad_u64_u32 v[76:77], s[8:9], v184, s30, v[54:55]
	v_accvgpr_write_b32 a136, v24
	v_accvgpr_write_b32 a127, v20
	;; [unrolled: 1-line block ×5, first 2 shown]
	ds_write_b128 v4, v[38:41]
	ds_write_b128 v4, v[26:29] offset:128
	v_accvgpr_write_b32 a119, v4
	ds_write_b128 v4, v[0:3] offset:256
	s_waitcnt lgkmcnt(0)
	; wave barrier
	s_waitcnt lgkmcnt(0)
	ds_read_b128 v[0:3], v74
	ds_read_b128 v[128:131], v74 offset:2688
	ds_read_b128 v[124:127], v74 offset:5376
	;; [unrolled: 1-line block ×20, first 2 shown]
	global_load_dwordx4 v[96:99], v[76:77], off offset:400
	global_load_dwordx4 v[70:73], v[76:77], off offset:384
	;; [unrolled: 1-line block ×4, first 2 shown]
	s_mov_b32 s14, 0x429ad128
	s_mov_b32 s15, 0x3febfeb5
	s_waitcnt vmcnt(3)
	v_accvgpr_write_b32 a125, v99
	s_waitcnt vmcnt(2)
	v_accvgpr_write_b32 a131, v73
	;; [unrolled: 2-line block ×3, first 2 shown]
	s_waitcnt vmcnt(0) lgkmcnt(14)
	v_mul_f64 v[52:53], v[130:131], v[64:65]
	v_mul_f64 v[60:61], v[128:129], v[64:65]
	v_accvgpr_write_b32 a141, v65
	v_fma_f64 v[52:53], v[128:129], v[62:63], -v[52:53]
	v_accvgpr_write_b32 a140, v64
	v_accvgpr_write_b32 a139, v63
	;; [unrolled: 1-line block ×3, first 2 shown]
	v_fmac_f64_e32 v[60:61], v[130:131], v[62:63]
	v_mul_f64 v[62:63], v[126:127], v[68:69]
	v_mul_f64 v[64:65], v[124:125], v[68:69]
	v_fma_f64 v[62:63], v[124:125], v[66:67], -v[62:63]
	v_accvgpr_write_b32 a134, v68
	v_accvgpr_write_b32 a133, v67
	;; [unrolled: 1-line block ×3, first 2 shown]
	v_fmac_f64_e32 v[64:65], v[126:127], v[66:67]
	v_mul_f64 v[66:67], v[118:119], v[72:73]
	v_mul_f64 v[68:69], v[116:117], v[72:73]
	v_fma_f64 v[66:67], v[116:117], v[70:71], -v[66:67]
	v_fmac_f64_e32 v[68:69], v[118:119], v[70:71]
	global_load_dwordx4 v[106:109], v[76:77], off offset:432
	global_load_dwordx4 v[116:119], v[76:77], off offset:416
	v_accvgpr_write_b32 a130, v72
	v_accvgpr_write_b32 a129, v71
	;; [unrolled: 1-line block ×3, first 2 shown]
	v_mul_f64 v[70:71], v[114:115], v[98:99]
	v_mul_f64 v[72:73], v[112:113], v[98:99]
	v_accvgpr_write_b32 a124, v98
	v_accvgpr_write_b32 a123, v97
	;; [unrolled: 1-line block ×3, first 2 shown]
	v_fma_f64 v[70:71], v[112:113], v[96:97], -v[70:71]
	v_mov_b32_e32 v112, v156
	v_fmac_f64_e32 v[72:73], v[114:115], v[96:97]
	v_accvgpr_write_b32 a2, v112
	s_waitcnt vmcnt(1)
	v_mul_f64 v[104:105], v[48:49], v[108:109]
	s_waitcnt vmcnt(0)
	v_mul_f64 v[76:77], v[122:123], v[118:119]
	v_fma_f64 v[98:99], v[120:121], v[116:117], -v[76:77]
	v_mul_f64 v[76:77], v[50:51], v[108:109]
	v_fma_f64 v[102:103], v[48:49], v[106:107], -v[76:77]
	v_mul_lo_u16_sdwa v48, v58, s12 dst_sel:DWORD dst_unused:UNUSED_PAD src0_sel:BYTE_0 src1_sel:DWORD
	v_lshrrev_b16_e32 v185, 12, v48
	v_mul_lo_u16_e32 v48, 24, v185
	v_sub_u16_e32 v48, v58, v48
	v_and_b32_e32 v186, 0xff, v48
	v_mul_f64 v[100:101], v[120:121], v[118:119]
	v_mad_u64_u32 v[76:77], s[8:9], v186, s30, v[54:55]
	v_fmac_f64_e32 v[100:101], v[122:123], v[116:117]
	global_load_dwordx4 v[120:123], v[76:77], off offset:400
	global_load_dwordx4 v[124:127], v[76:77], off offset:384
	;; [unrolled: 1-line block ×4, first 2 shown]
	v_fmac_f64_e32 v[104:105], v[50:51], v[106:107]
	v_accvgpr_write_b32 a145, v109
	v_accvgpr_write_b32 a144, v108
	;; [unrolled: 1-line block ×4, first 2 shown]
	s_waitcnt vmcnt(1) lgkmcnt(11)
	v_mul_f64 v[58:59], v[46:47], v[130:131]
	s_waitcnt vmcnt(0)
	v_mul_f64 v[48:49], v[138:139], v[134:135]
	v_mul_f64 v[50:51], v[136:137], v[134:135]
	v_fma_f64 v[48:49], v[136:137], v[132:133], -v[48:49]
	v_fmac_f64_e32 v[50:51], v[138:139], v[132:133]
	global_load_dwordx4 v[136:139], v[76:77], off offset:432
	global_load_dwordx4 v[140:143], v[76:77], off offset:416
	v_fma_f64 v[58:59], v[44:45], v[128:129], -v[58:59]
	v_mul_f64 v[44:45], v[44:45], v[130:131]
	v_fmac_f64_e32 v[44:45], v[46:47], v[128:129]
	s_waitcnt lgkmcnt(10)
	v_mul_f64 v[46:47], v[42:43], v[126:127]
	v_fma_f64 v[46:47], v[40:41], v[124:125], -v[46:47]
	v_mul_f64 v[40:41], v[40:41], v[126:127]
	v_fmac_f64_e32 v[40:41], v[42:43], v[124:125]
	s_waitcnt lgkmcnt(9)
	v_mul_f64 v[42:43], v[38:39], v[122:123]
	v_fma_f64 v[42:43], v[36:37], v[120:121], -v[42:43]
	v_mul_f64 v[36:37], v[36:37], v[122:123]
	v_fmac_f64_e32 v[36:37], v[38:39], v[120:121]
	s_waitcnt vmcnt(1) lgkmcnt(7)
	v_mul_f64 v[110:111], v[28:29], v[138:139]
	s_waitcnt vmcnt(0)
	v_mul_f64 v[38:39], v[34:35], v[142:143]
	v_fma_f64 v[106:107], v[32:33], v[140:141], -v[38:39]
	v_mul_f64 v[108:109], v[32:33], v[142:143]
	v_mul_f64 v[32:33], v[30:31], v[138:139]
	v_fma_f64 v[76:77], v[28:29], v[136:137], -v[32:33]
	v_mul_lo_u16_sdwa v28, v56, s12 dst_sel:DWORD dst_unused:UNUSED_PAD src0_sel:BYTE_0 src1_sel:DWORD
	v_lshrrev_b16_e32 v187, 12, v28
	v_mul_lo_u16_e32 v28, 24, v187
	v_sub_u16_e32 v28, v56, v28
	v_and_b32_e32 v188, 0xff, v28
	v_mad_u64_u32 v[172:173], s[8:9], v188, s30, v[54:55]
	global_load_dwordx4 v[144:147], v[172:173], off offset:400
	global_load_dwordx4 v[148:151], v[172:173], off offset:384
	;; [unrolled: 1-line block ×5, first 2 shown]
	s_nop 0
	global_load_dwordx4 v[172:175], v[172:173], off offset:416
	v_fmac_f64_e32 v[110:111], v[30:31], v[136:137]
	v_fmac_f64_e32 v[108:109], v[34:35], v[140:141]
	s_mov_b32 s12, 0x36b3c0b5
	s_mov_b32 s13, 0x3fac98ee
	;; [unrolled: 1-line block ×4, first 2 shown]
	s_waitcnt lgkmcnt(0)
	; wave barrier
	s_waitcnt vmcnt(5) lgkmcnt(0)
	v_mul_f64 v[96:97], v[12:13], v[146:147]
	s_waitcnt vmcnt(4)
	v_mul_f64 v[56:57], v[16:17], v[150:151]
	s_waitcnt vmcnt(3)
	;; [unrolled: 2-line block ×3, first 2 shown]
	v_mul_f64 v[28:29], v[26:27], v[158:159]
	v_fma_f64 v[28:29], v[24:25], v[156:157], -v[28:29]
	v_mul_f64 v[30:31], v[24:25], v[158:159]
	v_mul_f64 v[24:25], v[22:23], v[154:155]
	v_fma_f64 v[32:33], v[20:21], v[152:153], -v[24:25]
	v_mul_f64 v[20:21], v[18:19], v[150:151]
	v_fma_f64 v[38:39], v[16:17], v[148:149], -v[20:21]
	;; [unrolled: 2-line block ×3, first 2 shown]
	s_waitcnt vmcnt(0)
	v_mul_f64 v[12:13], v[10:11], v[174:175]
	v_fma_f64 v[176:177], v[8:9], v[172:173], -v[12:13]
	v_mul_f64 v[178:179], v[8:9], v[174:175]
	v_mul_f64 v[8:9], v[6:7], v[162:163]
	v_fma_f64 v[180:181], v[4:5], v[160:161], -v[8:9]
	v_mul_f64 v[182:183], v[4:5], v[162:163]
	v_add_f64 v[4:5], v[52:53], v[102:103]
	v_add_f64 v[12:13], v[62:63], v[98:99]
	v_fmac_f64_e32 v[96:97], v[14:15], v[144:145]
	v_fmac_f64_e32 v[182:183], v[6:7], v[160:161]
	v_add_f64 v[6:7], v[60:61], v[104:105]
	v_add_f64 v[8:9], v[52:53], -v[102:103]
	v_add_f64 v[14:15], v[64:65], v[100:101]
	v_add_f64 v[20:21], v[66:67], v[70:71]
	;; [unrolled: 1-line block ×3, first 2 shown]
	v_fmac_f64_e32 v[34:35], v[22:23], v[152:153]
	v_fmac_f64_e32 v[178:179], v[10:11], v[172:173]
	v_add_f64 v[10:11], v[60:61], -v[104:105]
	v_add_f64 v[16:17], v[62:63], -v[98:99]
	v_add_f64 v[22:23], v[68:69], v[72:73]
	v_add_f64 v[60:61], v[14:15], v[6:7]
	v_add_f64 v[62:63], v[12:13], -v[4:5]
	v_add_f64 v[4:5], v[4:5], -v[20:21]
	v_add_f64 v[12:13], v[20:21], -v[12:13]
	v_add_f64 v[20:21], v[20:21], v[52:53]
	v_fmac_f64_e32 v[30:31], v[26:27], v[156:157]
	v_fmac_f64_e32 v[56:57], v[18:19], v[148:149]
	v_add_f64 v[18:19], v[64:65], -v[100:101]
	v_add_f64 v[24:25], v[70:71], -v[66:67]
	v_add_f64 v[26:27], v[72:73], -v[68:69]
	v_add_f64 v[64:65], v[14:15], -v[6:7]
	v_add_f64 v[6:7], v[6:7], -v[22:23]
	v_add_f64 v[14:15], v[22:23], -v[14:15]
	v_add_f64 v[22:23], v[22:23], v[60:61]
	v_add_f64 v[0:1], v[0:1], v[20:21]
	;; [unrolled: 1-line block ×4, first 2 shown]
	v_add_f64 v[70:71], v[24:25], -v[16:17]
	v_add_f64 v[72:73], v[26:27], -v[18:19]
	;; [unrolled: 1-line block ×3, first 2 shown]
	v_add_f64 v[2:3], v[2:3], v[22:23]
	v_mov_b64_e32 v[98:99], v[0:1]
	v_add_f64 v[24:25], v[8:9], -v[24:25]
	v_add_f64 v[26:27], v[10:11], -v[26:27]
	;; [unrolled: 1-line block ×3, first 2 shown]
	v_add_f64 v[8:9], v[66:67], v[8:9]
	v_add_f64 v[10:11], v[68:69], v[10:11]
	v_mul_f64 v[4:5], v[4:5], s[26:27]
	v_mul_f64 v[52:53], v[12:13], s[12:13]
	;; [unrolled: 1-line block ×6, first 2 shown]
	v_fmac_f64_e32 v[98:99], s[24:25], v[20:21]
	v_mov_b64_e32 v[20:21], v[2:3]
	v_mul_f64 v[6:7], v[6:7], s[26:27]
	v_mul_f64 v[70:71], v[16:17], s[14:15]
	v_fmac_f64_e32 v[20:21], s[24:25], v[22:23]
	v_fma_f64 v[22:23], v[62:63], s[16:17], -v[52:53]
	v_fma_f64 v[52:53], v[64:65], s[16:17], -v[60:61]
	;; [unrolled: 1-line block ×5, first 2 shown]
	v_fmac_f64_e32 v[68:69], s[20:21], v[26:27]
	v_fma_f64 v[26:27], v[26:27], s[22:23], -v[72:73]
	v_fmac_f64_e32 v[4:5], s[12:13], v[12:13]
	v_fma_f64 v[12:13], v[64:65], s[18:19], -v[6:7]
	v_fmac_f64_e32 v[6:7], s[12:13], v[14:15]
	v_fmac_f64_e32 v[66:67], s[20:21], v[24:25]
	v_fma_f64 v[24:25], v[24:25], s[22:23], -v[70:71]
	v_add_f64 v[18:19], v[22:23], v[98:99]
	v_add_f64 v[22:23], v[52:53], v[20:21]
	;; [unrolled: 1-line block ×3, first 2 shown]
	v_fmac_f64_e32 v[62:63], s[8:9], v[8:9]
	v_fmac_f64_e32 v[16:17], s[8:9], v[10:11]
	v_fmac_f64_e32 v[26:27], s[8:9], v[10:11]
	v_add_f64 v[64:65], v[4:5], v[98:99]
	v_add_f64 v[70:71], v[6:7], v[20:21]
	;; [unrolled: 1-line block ×3, first 2 shown]
	v_fmac_f64_e32 v[66:67], s[8:9], v[8:9]
	v_fmac_f64_e32 v[68:69], s[8:9], v[10:11]
	;; [unrolled: 1-line block ×3, first 2 shown]
	v_add_f64 v[8:9], v[26:27], v[52:53]
	v_add_f64 v[12:13], v[18:19], -v[16:17]
	v_add_f64 v[14:15], v[62:63], v[22:23]
	v_add_f64 v[16:17], v[16:17], v[18:19]
	v_add_f64 v[18:19], v[22:23], -v[62:63]
	v_add_f64 v[20:21], v[52:53], -v[26:27]
	v_add_f64 v[52:53], v[48:49], v[76:77]
	v_add_f64 v[62:63], v[58:59], v[106:107]
	;; [unrolled: 1-line block ×3, first 2 shown]
	v_add_f64 v[6:7], v[70:71], -v[66:67]
	v_add_f64 v[10:11], v[60:61], -v[24:25]
	v_add_f64 v[22:23], v[24:25], v[60:61]
	v_add_f64 v[24:25], v[64:65], -v[68:69]
	v_add_f64 v[26:27], v[66:67], v[70:71]
	v_add_f64 v[60:61], v[50:51], v[110:111]
	;; [unrolled: 1-line block ×5, first 2 shown]
	v_add_f64 v[36:37], v[36:37], -v[40:41]
	v_add_f64 v[40:41], v[62:63], v[52:53]
	v_add_f64 v[42:43], v[42:43], -v[46:47]
	v_add_f64 v[46:47], v[64:65], v[60:61]
	v_add_f64 v[70:71], v[62:63], -v[52:53]
	v_add_f64 v[52:53], v[52:53], -v[66:67]
	;; [unrolled: 1-line block ×3, first 2 shown]
	v_add_f64 v[66:67], v[66:67], v[40:41]
	v_add_f64 v[48:49], v[48:49], -v[76:77]
	v_add_f64 v[50:51], v[50:51], -v[110:111]
	;; [unrolled: 1-line block ×4, first 2 shown]
	v_add_f64 v[46:47], v[68:69], v[46:47]
	v_add_f64 v[40:41], v[168:169], v[66:67]
	v_add_f64 v[72:73], v[64:65], -v[60:61]
	v_add_f64 v[60:61], v[60:61], -v[68:69]
	;; [unrolled: 1-line block ×3, first 2 shown]
	v_add_f64 v[76:77], v[42:43], v[58:59]
	v_add_f64 v[98:99], v[36:37], v[44:45]
	v_add_f64 v[100:101], v[42:43], -v[58:59]
	v_add_f64 v[102:103], v[36:37], -v[44:45]
	;; [unrolled: 1-line block ×5, first 2 shown]
	v_add_f64 v[42:43], v[170:171], v[46:47]
	v_mov_b64_e32 v[108:109], v[40:41]
	v_add_f64 v[36:37], v[50:51], -v[36:37]
	v_add_f64 v[48:49], v[76:77], v[48:49]
	v_add_f64 v[50:51], v[98:99], v[50:51]
	v_mul_f64 v[52:53], v[52:53], s[26:27]
	v_mul_f64 v[60:61], v[60:61], s[26:27]
	;; [unrolled: 1-line block ×8, first 2 shown]
	v_fmac_f64_e32 v[108:109], s[24:25], v[66:67]
	v_mov_b64_e32 v[66:67], v[42:43]
	v_fmac_f64_e32 v[66:67], s[24:25], v[46:47]
	v_fma_f64 v[46:47], v[70:71], s[16:17], -v[68:69]
	v_fma_f64 v[68:69], v[72:73], s[16:17], -v[76:77]
	;; [unrolled: 1-line block ×3, first 2 shown]
	v_fmac_f64_e32 v[52:53], s[12:13], v[62:63]
	v_fma_f64 v[62:63], v[72:73], s[18:19], -v[60:61]
	v_fmac_f64_e32 v[60:61], s[12:13], v[64:65]
	v_fma_f64 v[64:65], v[58:59], s[14:15], -v[98:99]
	v_fma_f64 v[72:73], v[44:45], s[14:15], -v[100:101]
	v_fmac_f64_e32 v[100:101], s[20:21], v[36:37]
	v_fma_f64 v[76:77], v[104:105], s[22:23], -v[102:103]
	v_fma_f64 v[36:37], v[36:37], s[22:23], -v[106:107]
	v_fmac_f64_e32 v[98:99], s[20:21], v[104:105]
	v_add_f64 v[68:69], v[68:69], v[66:67]
	v_add_f64 v[70:71], v[70:71], v[108:109]
	;; [unrolled: 1-line block ×3, first 2 shown]
	v_fmac_f64_e32 v[64:65], s[8:9], v[48:49]
	v_fmac_f64_e32 v[76:77], s[8:9], v[48:49]
	;; [unrolled: 1-line block ×3, first 2 shown]
	v_add_f64 v[52:53], v[52:53], v[108:109]
	v_add_f64 v[102:103], v[60:61], v[66:67]
	;; [unrolled: 1-line block ×3, first 2 shown]
	v_fmac_f64_e32 v[98:99], s[8:9], v[48:49]
	v_fmac_f64_e32 v[100:101], s[8:9], v[50:51]
	;; [unrolled: 1-line block ×3, first 2 shown]
	v_add_f64 v[48:49], v[36:37], v[70:71]
	v_add_f64 v[50:51], v[106:107], -v[76:77]
	v_add_f64 v[60:61], v[64:65], v[68:69]
	v_add_f64 v[64:65], v[68:69], -v[64:65]
	v_add_f64 v[66:67], v[70:71], -v[36:37]
	v_add_f64 v[68:69], v[76:77], v[106:107]
	v_add_f64 v[36:37], v[28:29], v[180:181]
	;; [unrolled: 1-line block ×4, first 2 shown]
	v_add_f64 v[46:47], v[102:103], -v[98:99]
	v_add_f64 v[58:59], v[104:105], -v[72:73]
	v_add_f64 v[62:63], v[72:73], v[104:105]
	v_add_f64 v[70:71], v[52:53], -v[100:101]
	v_add_f64 v[72:73], v[98:99], v[102:103]
	v_add_f64 v[52:53], v[30:31], v[182:183]
	;; [unrolled: 1-line block ×3, first 2 shown]
	v_add_f64 v[32:33], v[32:33], -v[176:177]
	v_add_f64 v[100:101], v[38:39], v[78:79]
	v_add_f64 v[38:39], v[78:79], -v[38:39]
	v_add_f64 v[78:79], v[76:77], v[36:37]
	v_add_f64 v[28:29], v[28:29], -v[180:181]
	v_add_f64 v[34:35], v[34:35], -v[178:179]
	v_add_f64 v[102:103], v[56:57], v[96:97]
	v_add_f64 v[56:57], v[96:97], -v[56:57]
	v_add_f64 v[96:97], v[98:99], v[52:53]
	v_add_f64 v[108:109], v[38:39], v[32:33]
	;; [unrolled: 1-line block ×3, first 2 shown]
	v_add_f64 v[30:31], v[30:31], -v[182:183]
	v_add_f64 v[104:105], v[76:77], -v[36:37]
	;; [unrolled: 1-line block ×4, first 2 shown]
	v_add_f64 v[110:111], v[56:57], v[34:35]
	v_add_f64 v[168:169], v[38:39], -v[32:33]
	v_add_f64 v[38:39], v[28:29], -v[38:39]
	;; [unrolled: 1-line block ×3, first 2 shown]
	v_add_f64 v[96:97], v[102:103], v[96:97]
	v_add_f64 v[100:101], v[108:109], v[28:29]
	;; [unrolled: 1-line block ×3, first 2 shown]
	v_add_f64 v[106:107], v[98:99], -v[52:53]
	v_add_f64 v[52:53], v[52:53], -v[102:103]
	;; [unrolled: 1-line block ×6, first 2 shown]
	v_add_f64 v[102:103], v[110:111], v[30:31]
	v_add_f64 v[30:31], v[166:167], v[96:97]
	v_mov_b64_e32 v[176:177], v[28:29]
	v_mul_f64 v[36:37], v[36:37], s[26:27]
	v_mul_f64 v[52:53], v[52:53], s[26:27]
	;; [unrolled: 1-line block ×6, first 2 shown]
	v_fmac_f64_e32 v[176:177], s[24:25], v[78:79]
	v_mov_b64_e32 v[78:79], v[30:31]
	v_fmac_f64_e32 v[78:79], s[24:25], v[96:97]
	v_fma_f64 v[96:97], v[104:105], s[16:17], -v[108:109]
	v_fma_f64 v[108:109], v[106:107], s[16:17], -v[110:111]
	;; [unrolled: 1-line block ×3, first 2 shown]
	v_fmac_f64_e32 v[36:37], s[12:13], v[76:77]
	v_fma_f64 v[76:77], v[106:107], s[18:19], -v[52:53]
	v_fmac_f64_e32 v[52:53], s[12:13], v[98:99]
	v_fma_f64 v[98:99], v[32:33], s[14:15], -v[164:165]
	;; [unrolled: 2-line block ×3, first 2 shown]
	v_mul_f64 v[170:171], v[34:35], s[14:15]
	v_add_f64 v[52:53], v[52:53], v[78:79]
	v_add_f64 v[96:97], v[96:97], v[176:177]
	v_fmac_f64_e32 v[164:165], s[8:9], v[100:101]
	v_fmac_f64_e32 v[106:107], s[8:9], v[102:103]
	;; [unrolled: 1-line block ×3, first 2 shown]
	v_fma_f64 v[56:57], v[56:57], s[22:23], -v[170:171]
	v_add_f64 v[170:171], v[76:77], v[78:79]
	v_add_f64 v[34:35], v[52:53], -v[164:165]
	v_add_f64 v[76:77], v[96:97], -v[106:107]
	v_add_f64 v[96:97], v[106:107], v[96:97]
	v_add_f64 v[106:107], v[164:165], v[52:53]
	v_mul_u32_u24_e32 v52, 0xa8, v75
	v_mul_f64 v[168:169], v[32:33], s[14:15]
	v_add_lshl_u32 v113, v52, v184, 4
	v_fma_f64 v[110:111], v[38:39], s[22:23], -v[168:169]
	ds_write_b128 v113, v[0:3]
	ds_write_b128 v113, v[4:7] offset:384
	ds_write_b128 v113, v[8:11] offset:768
	;; [unrolled: 1-line block ×6, first 2 shown]
	v_mul_u32_u24_e32 v0, 0xa8, v185
	v_add_f64 v[168:169], v[36:37], v[176:177]
	v_add_f64 v[104:105], v[104:105], v[176:177]
	v_fmac_f64_e32 v[166:167], s[8:9], v[102:103]
	v_fmac_f64_e32 v[110:111], s[8:9], v[100:101]
	v_fmac_f64_e32 v[56:57], s[8:9], v[102:103]
	v_add_lshl_u32 v114, v0, v186, 4
	v_mul_u32_u24_e32 v0, 0xa8, v187
	v_add_f64 v[108:109], v[108:109], v[78:79]
	v_fmac_f64_e32 v[98:99], s[8:9], v[100:101]
	v_add_f64 v[32:33], v[166:167], v[168:169]
	v_add_f64 v[36:37], v[56:57], v[104:105]
	v_add_f64 v[38:39], v[170:171], -v[110:111]
	v_add_lshl_u32 v75, v0, v188, 4
	v_mad_u64_u32 v[52:53], s[30:31], v112, s30, v[54:55]
	v_add_f64 v[78:79], v[98:99], v[108:109]
	v_add_f64 v[98:99], v[108:109], -v[98:99]
	v_add_f64 v[100:101], v[104:105], -v[56:57]
	v_add_f64 v[102:103], v[110:111], v[170:171]
	v_add_f64 v[104:105], v[168:169], -v[166:167]
	ds_write_b128 v114, v[40:43]
	ds_write_b128 v114, v[44:47] offset:384
	ds_write_b128 v114, v[48:51] offset:768
	;; [unrolled: 1-line block ×6, first 2 shown]
	ds_write_b128 v75, v[28:31]
	ds_write_b128 v75, v[32:35] offset:384
	ds_write_b128 v75, v[36:39] offset:768
	ds_write_b128 v75, v[76:79] offset:1152
	ds_write_b128 v75, v[96:99] offset:1536
	ds_write_b128 v75, v[100:103] offset:1920
	ds_write_b128 v75, v[104:107] offset:2304
	s_waitcnt lgkmcnt(0)
	; wave barrier
	s_waitcnt lgkmcnt(0)
	ds_read_b128 v[252:255], v74
	ds_read_b128 v[200:203], v74 offset:2688
	ds_read_b128 v[196:199], v74 offset:5376
	;; [unrolled: 1-line block ×20, first 2 shown]
	global_load_dwordx4 v[164:167], v[52:53], off offset:2704
	global_load_dwordx4 v[168:171], v[52:53], off offset:2688
	;; [unrolled: 1-line block ×4, first 2 shown]
	s_mov_b64 s[30:31], 0x1500
	s_waitcnt vmcnt(3) lgkmcnt(14)
	v_mul_f64 v[96:97], v[180:181], v[166:167]
	s_waitcnt vmcnt(2)
	v_mul_f64 v[242:243], v[188:189], v[170:171]
	v_fmac_f64_e32 v[242:243], v[190:191], v[168:169]
	s_waitcnt vmcnt(0)
	v_mul_f64 v[54:55], v[202:203], v[186:187]
	v_fma_f64 v[102:103], v[200:201], v[184:185], -v[54:55]
	v_mul_f64 v[54:55], v[198:199], v[178:179]
	v_fma_f64 v[98:99], v[196:197], v[176:177], -v[54:55]
	;; [unrolled: 2-line block ×4, first 2 shown]
	v_fmac_f64_e32 v[96:97], v[182:183], v[164:165]
	global_load_dwordx4 v[180:183], v[52:53], off offset:2736
	global_load_dwordx4 v[188:191], v[52:53], off offset:2720
	v_mul_f64 v[104:105], v[200:201], v[186:187]
	v_mul_f64 v[100:101], v[196:197], v[178:179]
	v_fmac_f64_e32 v[104:105], v[202:203], v[184:185]
	v_fmac_f64_e32 v[100:101], v[198:199], v[176:177]
	s_waitcnt vmcnt(1)
	v_mul_f64 v[76:77], v[48:49], v[182:183]
	s_waitcnt vmcnt(0)
	v_mul_f64 v[56:57], v[194:195], v[190:191]
	v_fma_f64 v[106:107], v[192:193], v[188:189], -v[56:57]
	v_mul_f64 v[56:57], v[50:51], v[182:183]
	v_mul_f64 v[108:109], v[192:193], v[190:191]
	v_fma_f64 v[110:111], v[48:49], v[180:181], -v[56:57]
	v_lshl_add_u64 v[48:49], v[52:53], 0, s[30:31]
	v_fmac_f64_e32 v[108:109], v[194:195], v[188:189]
	global_load_dwordx4 v[192:195], v[48:49], off offset:2704
	global_load_dwordx4 v[196:199], v[48:49], off offset:2688
	;; [unrolled: 1-line block ×6, first 2 shown]
	v_fmac_f64_e32 v[76:77], v[50:51], v[180:181]
	s_mov_b64 s[30:31], 0x2a00
	s_waitcnt vmcnt(2) lgkmcnt(12)
	v_mul_f64 v[50:51], v[46:47], v[210:211]
	v_fma_f64 v[66:67], v[44:45], v[208:209], -v[50:51]
	v_mul_f64 v[68:69], v[44:45], v[210:211]
	s_waitcnt lgkmcnt(11)
	v_mul_f64 v[44:45], v[42:43], v[202:203]
	v_fmac_f64_e32 v[68:69], v[46:47], v[208:209]
	v_fma_f64 v[44:45], v[40:41], v[200:201], -v[44:45]
	v_mul_f64 v[46:47], v[40:41], v[202:203]
	s_waitcnt lgkmcnt(10)
	v_mul_f64 v[40:41], v[38:39], v[198:199]
	v_fma_f64 v[40:41], v[36:37], v[196:197], -v[40:41]
	v_mul_f64 v[36:37], v[36:37], v[198:199]
	v_fmac_f64_e32 v[36:37], v[38:39], v[196:197]
	s_waitcnt lgkmcnt(9)
	v_mul_f64 v[38:39], v[34:35], v[194:195]
	v_fma_f64 v[38:39], v[32:33], v[192:193], -v[38:39]
	v_mul_f64 v[32:33], v[32:33], v[194:195]
	v_fmac_f64_e32 v[32:33], v[34:35], v[192:193]
	s_waitcnt vmcnt(0) lgkmcnt(8)
	v_mul_f64 v[34:35], v[30:31], v[214:215]
	v_fma_f64 v[34:35], v[28:29], v[212:213], -v[34:35]
	v_mul_f64 v[28:29], v[28:29], v[214:215]
	v_fmac_f64_e32 v[28:29], v[30:31], v[212:213]
	s_waitcnt lgkmcnt(7)
	v_mul_f64 v[30:31], v[26:27], v[206:207]
	v_fma_f64 v[30:31], v[24:25], v[204:205], -v[30:31]
	v_mul_f64 v[24:25], v[24:25], v[206:207]
	v_fmac_f64_e32 v[24:25], v[26:27], v[204:205]
	v_lshl_add_u64 v[26:27], v[52:53], 0, s[30:31]
	global_load_dwordx4 v[216:219], v[26:27], off offset:2704
	global_load_dwordx4 v[220:223], v[26:27], off offset:2688
	global_load_dwordx4 v[224:227], v[26:27], off offset:2672
	global_load_dwordx4 v[228:231], v[26:27], off offset:2656
	global_load_dwordx4 v[232:235], v[26:27], off offset:2736
	global_load_dwordx4 v[236:239], v[26:27], off offset:2720
	v_fmac_f64_e32 v[46:47], v[42:43], v[200:201]
	s_waitcnt vmcnt(5) lgkmcnt(2)
	v_mul_f64 v[56:57], v[8:9], v[218:219]
	s_waitcnt vmcnt(4)
	v_mul_f64 v[50:51], v[12:13], v[222:223]
	s_waitcnt vmcnt(3)
	;; [unrolled: 2-line block ×3, first 2 shown]
	v_mul_f64 v[42:43], v[22:23], v[230:231]
	v_fma_f64 v[62:63], v[20:21], v[228:229], -v[42:43]
	v_mul_f64 v[64:65], v[20:21], v[230:231]
	v_mul_f64 v[20:21], v[18:19], v[226:227]
	v_fma_f64 v[58:59], v[16:17], v[224:225], -v[20:21]
	v_mul_f64 v[16:17], v[14:15], v[222:223]
	v_fma_f64 v[16:17], v[12:13], v[220:221], -v[16:17]
	;; [unrolled: 2-line block ×3, first 2 shown]
	s_waitcnt vmcnt(0) lgkmcnt(1)
	v_mul_f64 v[8:9], v[6:7], v[238:239]
	v_fma_f64 v[70:71], v[4:5], v[236:237], -v[8:9]
	v_mul_f64 v[52:53], v[4:5], v[238:239]
	s_waitcnt lgkmcnt(0)
	v_mul_f64 v[4:5], v[2:3], v[234:235]
	v_accvgpr_write_b32 a153, v17
	v_fma_f64 v[72:73], v[0:1], v[232:233], -v[4:5]
	v_mul_f64 v[78:79], v[0:1], v[234:235]
	v_add_f64 v[0:1], v[102:103], v[110:111]
	v_add_f64 v[8:9], v[98:99], v[106:107]
	v_accvgpr_write_b32 a152, v16
	v_fmac_f64_e32 v[56:57], v[10:11], v[216:217]
	v_fmac_f64_e32 v[78:79], v[2:3], v[232:233]
	v_add_f64 v[2:3], v[104:105], v[76:77]
	v_add_f64 v[10:11], v[100:101], v[108:109]
	;; [unrolled: 1-line block ×4, first 2 shown]
	v_fmac_f64_e32 v[60:61], v[18:19], v[224:225]
	v_add_f64 v[12:13], v[98:99], -v[106:107]
	v_add_f64 v[18:19], v[242:243], v[96:97]
	v_add_f64 v[20:21], v[54:55], -v[240:241]
	v_add_f64 v[42:43], v[10:11], v[2:3]
	v_add_f64 v[54:55], v[8:9], -v[0:1]
	v_add_f64 v[0:1], v[0:1], -v[16:17]
	;; [unrolled: 1-line block ×3, first 2 shown]
	v_add_f64 v[16:17], v[16:17], v[26:27]
	v_fmac_f64_e32 v[64:65], v[22:23], v[228:229]
	v_fmac_f64_e32 v[50:51], v[14:15], v[220:221]
	;; [unrolled: 1-line block ×3, first 2 shown]
	v_add_f64 v[4:5], v[102:103], -v[110:111]
	v_add_f64 v[6:7], v[104:105], -v[76:77]
	;; [unrolled: 1-line block ×8, first 2 shown]
	v_add_f64 v[18:19], v[18:19], v[42:43]
	v_add_f64 v[252:253], v[252:253], v[16:17]
	;; [unrolled: 1-line block ×4, first 2 shown]
	v_add_f64 v[102:103], v[22:23], -v[14:15]
	v_add_f64 v[106:107], v[6:7], -v[22:23]
	;; [unrolled: 1-line block ×4, first 2 shown]
	v_add_f64 v[254:255], v[254:255], v[18:19]
	v_mul_f64 v[22:23], v[100:101], s[28:29]
	v_mov_b64_e32 v[100:101], v[252:253]
	v_add_f64 v[104:105], v[4:5], -v[20:21]
	v_add_f64 v[4:5], v[96:97], v[4:5]
	v_add_f64 v[6:7], v[98:99], v[6:7]
	v_mul_f64 v[0:1], v[0:1], s[26:27]
	v_mul_f64 v[2:3], v[2:3], s[26:27]
	;; [unrolled: 1-line block ×7, first 2 shown]
	v_fmac_f64_e32 v[100:101], s[24:25], v[16:17]
	v_mov_b64_e32 v[16:17], v[254:255]
	v_fmac_f64_e32 v[16:17], s[24:25], v[18:19]
	v_fma_f64 v[18:19], v[54:55], s[16:17], -v[26:27]
	v_fma_f64 v[26:27], v[76:77], s[16:17], -v[42:43]
	;; [unrolled: 1-line block ×3, first 2 shown]
	v_fmac_f64_e32 v[0:1], s[12:13], v[8:9]
	v_fma_f64 v[8:9], v[76:77], s[18:19], -v[2:3]
	v_fma_f64 v[54:55], v[12:13], s[14:15], -v[22:23]
	v_fma_f64 v[12:13], v[14:15], s[14:15], -v[20:21]
	v_fma_f64 v[76:77], v[104:105], s[22:23], -v[96:97]
	v_fma_f64 v[96:97], v[106:107], s[22:23], -v[98:99]
	v_fmac_f64_e32 v[2:3], s[12:13], v[10:11]
	v_add_f64 v[14:15], v[18:19], v[100:101]
	v_add_f64 v[18:19], v[26:27], v[16:17]
	;; [unrolled: 1-line block ×3, first 2 shown]
	v_fmac_f64_e32 v[54:55], s[8:9], v[4:5]
	v_fmac_f64_e32 v[12:13], s[8:9], v[6:7]
	;; [unrolled: 1-line block ×3, first 2 shown]
	v_add_f64 v[98:99], v[0:1], v[100:101]
	v_add_f64 v[102:103], v[2:3], v[16:17]
	;; [unrolled: 1-line block ×3, first 2 shown]
	v_fmac_f64_e32 v[76:77], s[8:9], v[4:5]
	v_add_f64 v[0:1], v[96:97], v[26:27]
	v_add_f64 v[8:9], v[14:15], -v[12:13]
	v_add_f64 v[10:11], v[54:55], v[18:19]
	v_add_f64 v[12:13], v[12:13], v[14:15]
	v_add_f64 v[14:15], v[18:19], -v[54:55]
	v_add_f64 v[16:17], v[26:27], -v[96:97]
	v_add_f64 v[26:27], v[66:67], v[30:31]
	v_add_f64 v[54:55], v[44:45], v[34:35]
	v_add_f64 v[2:3], v[42:43], -v[76:77]
	v_add_f64 v[18:19], v[76:77], v[42:43]
	v_add_f64 v[42:43], v[68:69], v[24:25]
	v_add_f64 v[30:31], v[66:67], -v[30:31]
	v_add_f64 v[66:67], v[46:47], v[28:29]
	v_add_f64 v[34:35], v[44:45], -v[34:35]
	v_add_f64 v[28:29], v[46:47], -v[28:29]
	v_add_f64 v[44:45], v[40:41], v[38:39]
	v_add_f64 v[46:47], v[36:37], v[32:33]
	v_add_f64 v[32:33], v[32:33], -v[36:37]
	v_add_f64 v[36:37], v[54:55], v[26:27]
	v_fmac_f64_e32 v[22:23], s[20:21], v[104:105]
	v_fmac_f64_e32 v[20:21], s[20:21], v[106:107]
	v_add_f64 v[38:39], v[38:39], -v[40:41]
	v_add_f64 v[40:41], v[66:67], v[42:43]
	v_add_f64 v[36:37], v[44:45], v[36:37]
	v_fmac_f64_e32 v[22:23], s[8:9], v[4:5]
	v_fmac_f64_e32 v[20:21], s[8:9], v[6:7]
	v_add_f64 v[40:41], v[46:47], v[40:41]
	v_add_f64 v[248:249], v[248:249], v[36:37]
	;; [unrolled: 1-line block ×3, first 2 shown]
	v_add_f64 v[6:7], v[102:103], -v[22:23]
	v_add_f64 v[20:21], v[98:99], -v[20:21]
	v_add_f64 v[22:23], v[22:23], v[102:103]
	v_add_f64 v[24:25], v[68:69], -v[24:25]
	v_add_f64 v[68:69], v[54:55], -v[26:27]
	;; [unrolled: 1-line block ×7, first 2 shown]
	v_add_f64 v[96:97], v[38:39], v[34:35]
	v_add_f64 v[98:99], v[32:33], v[28:29]
	v_add_f64 v[102:103], v[32:33], -v[28:29]
	v_add_f64 v[250:251], v[250:251], v[40:41]
	v_mov_b64_e32 v[104:105], v[248:249]
	v_add_f64 v[100:101], v[38:39], -v[34:35]
	v_add_f64 v[38:39], v[30:31], -v[38:39]
	;; [unrolled: 1-line block ×5, first 2 shown]
	v_add_f64 v[30:31], v[96:97], v[30:31]
	v_add_f64 v[24:25], v[98:99], v[24:25]
	v_mul_f64 v[26:27], v[26:27], s[26:27]
	v_mul_f64 v[42:43], v[42:43], s[26:27]
	v_mul_f64 v[96:97], v[54:55], s[12:13]
	v_mul_f64 v[98:99], v[66:67], s[12:13]
	v_mul_f64 v[44:45], v[102:103], s[28:29]
	v_fmac_f64_e32 v[104:105], s[24:25], v[36:37]
	v_mov_b64_e32 v[36:37], v[250:251]
	v_mul_f64 v[46:47], v[100:101], s[28:29]
	v_mul_f64 v[100:101], v[34:35], s[14:15]
	;; [unrolled: 1-line block ×3, first 2 shown]
	v_fmac_f64_e32 v[36:37], s[24:25], v[40:41]
	v_fma_f64 v[40:41], v[68:69], s[16:17], -v[96:97]
	v_fma_f64 v[96:97], v[76:77], s[16:17], -v[98:99]
	;; [unrolled: 1-line block ×3, first 2 shown]
	v_fmac_f64_e32 v[26:27], s[12:13], v[54:55]
	v_fma_f64 v[54:55], v[76:77], s[18:19], -v[42:43]
	v_fma_f64 v[76:77], v[28:29], s[14:15], -v[44:45]
	v_fmac_f64_e32 v[42:43], s[12:13], v[66:67]
	v_fma_f64 v[66:67], v[34:35], s[14:15], -v[46:47]
	v_fmac_f64_e32 v[46:47], s[20:21], v[38:39]
	v_fma_f64 v[98:99], v[38:39], s[22:23], -v[100:101]
	v_fma_f64 v[100:101], v[32:33], s[22:23], -v[102:103]
	v_add_f64 v[38:39], v[40:41], v[104:105]
	v_fmac_f64_e32 v[76:77], s[8:9], v[24:25]
	v_fmac_f64_e32 v[44:45], s[20:21], v[32:33]
	v_add_f64 v[106:107], v[42:43], v[36:37]
	v_add_f64 v[40:41], v[96:97], v[36:37]
	;; [unrolled: 1-line block ×4, first 2 shown]
	v_fmac_f64_e32 v[66:67], s[8:9], v[30:31]
	v_fmac_f64_e32 v[98:99], s[8:9], v[30:31]
	;; [unrolled: 1-line block ×3, first 2 shown]
	v_add_f64 v[32:33], v[38:39], -v[76:77]
	v_add_f64 v[36:37], v[76:77], v[38:39]
	v_accvgpr_read_b32 v76, a152
	v_add_f64 v[102:103], v[26:27], v[104:105]
	v_fmac_f64_e32 v[44:45], s[8:9], v[24:25]
	v_add_f64 v[24:25], v[100:101], v[42:43]
	v_add_f64 v[26:27], v[54:55], -v[98:99]
	v_add_f64 v[34:35], v[66:67], v[40:41]
	v_add_f64 v[38:39], v[40:41], -v[66:67]
	v_add_f64 v[40:41], v[42:43], -v[100:101]
	v_add_f64 v[42:43], v[98:99], v[54:55]
	v_add_f64 v[54:55], v[62:63], v[72:73]
	;; [unrolled: 1-line block ×3, first 2 shown]
	v_accvgpr_read_b32 v77, a153
	v_add_f64 v[66:67], v[64:65], v[78:79]
	v_add_f64 v[62:63], v[62:63], -v[72:73]
	v_add_f64 v[72:73], v[60:61], v[52:53]
	v_add_f64 v[58:59], v[58:59], -v[70:71]
	v_add_f64 v[52:53], v[60:61], -v[52:53]
	v_add_f64 v[60:61], v[76:77], v[48:49]
	v_add_f64 v[70:71], v[50:51], v[56:57]
	v_add_f64 v[50:51], v[56:57], -v[50:51]
	v_add_f64 v[56:57], v[68:69], v[54:55]
	v_fmac_f64_e32 v[46:47], s[8:9], v[30:31]
	v_add_f64 v[48:49], v[48:49], -v[76:77]
	v_add_f64 v[76:77], v[72:73], v[66:67]
	v_add_f64 v[56:57], v[60:61], v[56:57]
	;; [unrolled: 1-line block ×3, first 2 shown]
	v_add_f64 v[30:31], v[106:107], -v[46:47]
	v_add_f64 v[44:45], v[102:103], -v[44:45]
	v_add_f64 v[46:47], v[46:47], v[106:107]
	v_add_f64 v[64:65], v[64:65], -v[78:79]
	v_add_f64 v[78:79], v[68:69], -v[54:55]
	;; [unrolled: 1-line block ×4, first 2 shown]
	v_add_f64 v[98:99], v[48:49], v[58:59]
	v_add_f64 v[102:103], v[48:49], -v[58:59]
	v_add_f64 v[104:105], v[50:51], -v[52:53]
	;; [unrolled: 1-line block ×3, first 2 shown]
	v_add_f64 v[60:61], v[70:71], v[76:77]
	v_add_f64 v[48:49], v[244:245], v[56:57]
	v_add_f64 v[96:97], v[72:73], -v[66:67]
	v_add_f64 v[66:67], v[66:67], -v[70:71]
	;; [unrolled: 1-line block ×3, first 2 shown]
	v_add_f64 v[100:101], v[50:51], v[52:53]
	v_add_f64 v[108:109], v[64:65], -v[50:51]
	v_add_f64 v[58:59], v[58:59], -v[62:63]
	;; [unrolled: 1-line block ×3, first 2 shown]
	v_add_f64 v[50:51], v[246:247], v[60:61]
	v_mul_f64 v[52:53], v[104:105], s[28:29]
	v_mov_b64_e32 v[104:105], v[48:49]
	v_add_f64 v[62:63], v[98:99], v[62:63]
	v_add_f64 v[64:65], v[100:101], v[64:65]
	v_mul_f64 v[54:55], v[54:55], s[26:27]
	v_mul_f64 v[66:67], v[66:67], s[26:27]
	;; [unrolled: 1-line block ×7, first 2 shown]
	v_fmac_f64_e32 v[104:105], s[24:25], v[56:57]
	v_mov_b64_e32 v[56:57], v[50:51]
	v_fmac_f64_e32 v[56:57], s[24:25], v[60:61]
	v_fma_f64 v[60:61], s[12:13], v[68:69], v[54:55]
	v_fma_f64 v[68:69], v[78:79], s[16:17], -v[70:71]
	v_fma_f64 v[70:71], v[96:97], s[16:17], -v[76:77]
	;; [unrolled: 1-line block ×4, first 2 shown]
	v_fmac_f64_e32 v[66:67], s[12:13], v[72:73]
	v_fma_f64 v[78:79], s[20:21], v[106:107], v[98:99]
	v_fma_f64 v[72:73], v[58:59], s[14:15], -v[98:99]
	v_fma_f64 v[96:97], v[110:111], s[14:15], -v[52:53]
	v_fmac_f64_e32 v[52:53], s[20:21], v[108:109]
	v_fma_f64 v[98:99], v[106:107], s[22:23], -v[100:101]
	v_fma_f64 v[100:101], v[108:109], s[22:23], -v[102:103]
	v_add_f64 v[102:103], v[60:61], v[104:105]
	v_add_f64 v[106:107], v[66:67], v[56:57]
	v_add_f64 v[66:67], v[68:69], v[104:105]
	v_add_f64 v[68:69], v[70:71], v[56:57]
	v_add_f64 v[70:71], v[54:55], v[104:105]
	v_add_f64 v[76:77], v[76:77], v[56:57]
	v_fmac_f64_e32 v[78:79], s[8:9], v[62:63]
	v_fmac_f64_e32 v[52:53], s[8:9], v[64:65]
	;; [unrolled: 1-line block ×6, first 2 shown]
	v_add_f64 v[54:55], v[52:53], v[102:103]
	v_add_f64 v[56:57], v[106:107], -v[78:79]
	v_add_f64 v[58:59], v[100:101], v[70:71]
	v_add_f64 v[60:61], v[76:77], -v[98:99]
	v_add_f64 v[62:63], v[66:67], -v[96:97]
	v_add_f64 v[64:65], v[72:73], v[68:69]
	v_add_f64 v[66:67], v[96:97], v[66:67]
	v_add_f64 v[68:69], v[68:69], -v[72:73]
	v_add_f64 v[70:71], v[70:71], -v[100:101]
	v_add_f64 v[72:73], v[98:99], v[76:77]
	v_add_f64 v[244:245], v[102:103], -v[52:53]
	v_add_f64 v[246:247], v[78:79], v[106:107]
	ds_write_b128 v74, v[252:255]
	ds_write_b128 v74, v[4:7] offset:2688
	ds_write_b128 v74, v[0:3] offset:5376
	;; [unrolled: 1-line block ×20, first 2 shown]
	v_lshlrev_b32_e32 v18, 4, v112
	s_waitcnt lgkmcnt(0)
	; wave barrier
	s_waitcnt lgkmcnt(0)
	global_load_dwordx4 v[4:7], v18, s[0:1]
	ds_read_b128 v[0:3], v74
	v_mov_b32_e32 v19, 0
	v_lshl_add_u64 v[8:9], s[0:1], 0, v[18:19]
	s_movk_i32 s8, 0x2000
	s_waitcnt vmcnt(0) lgkmcnt(0)
	v_mul_f64 v[10:11], v[2:3], v[6:7]
	v_fma_f64 v[10:11], v[0:1], v[4:5], -v[10:11]
	v_mul_f64 v[12:13], v[0:1], v[6:7]
	v_add_co_u32_e32 v0, vcc, s8, v8
	v_fmac_f64_e32 v[12:13], v[2:3], v[4:5]
	s_nop 0
	v_addc_co_u32_e32 v1, vcc, 0, v9, vcc
	ds_write_b128 v74, v[10:13]
	global_load_dwordx4 v[10:13], v[0:1], off offset:1216
	ds_read_b128 v[2:5], v74 offset:9408
	s_movk_i32 s8, 0x3000
	s_waitcnt vmcnt(0) lgkmcnt(0)
	v_mul_f64 v[6:7], v[4:5], v[12:13]
	v_mul_f64 v[16:17], v[2:3], v[12:13]
	v_fma_f64 v[14:15], v[2:3], v[10:11], -v[6:7]
	v_fmac_f64_e32 v[16:17], v[4:5], v[10:11]
	global_load_dwordx4 v[10:13], v18, s[0:1] offset:896
	ds_read_b128 v[2:5], v74 offset:896
	ds_write_b128 v74, v[14:17] offset:9408
	s_waitcnt vmcnt(0) lgkmcnt(1)
	v_mul_f64 v[6:7], v[4:5], v[12:13]
	v_mul_f64 v[16:17], v[2:3], v[12:13]
	v_fma_f64 v[14:15], v[2:3], v[10:11], -v[6:7]
	v_fmac_f64_e32 v[16:17], v[4:5], v[10:11]
	global_load_dwordx4 v[10:13], v[0:1], off offset:2112
	ds_read_b128 v[2:5], v74 offset:10304
	ds_write_b128 v74, v[14:17] offset:896
	s_waitcnt vmcnt(0) lgkmcnt(1)
	v_mul_f64 v[6:7], v[4:5], v[12:13]
	v_mul_f64 v[16:17], v[2:3], v[12:13]
	v_fma_f64 v[14:15], v[2:3], v[10:11], -v[6:7]
	v_fmac_f64_e32 v[16:17], v[4:5], v[10:11]
	global_load_dwordx4 v[10:13], v18, s[0:1] offset:1792
	ds_read_b128 v[2:5], v74 offset:1792
	ds_write_b128 v74, v[14:17] offset:10304
	s_waitcnt vmcnt(0) lgkmcnt(1)
	v_mul_f64 v[6:7], v[4:5], v[12:13]
	v_mul_f64 v[16:17], v[2:3], v[12:13]
	v_fma_f64 v[14:15], v[2:3], v[10:11], -v[6:7]
	v_fmac_f64_e32 v[16:17], v[4:5], v[10:11]
	global_load_dwordx4 v[10:13], v[0:1], off offset:3008
	ds_read_b128 v[2:5], v74 offset:11200
	ds_write_b128 v74, v[14:17] offset:1792
	s_waitcnt vmcnt(0) lgkmcnt(1)
	v_mul_f64 v[6:7], v[4:5], v[12:13]
	v_mul_f64 v[16:17], v[2:3], v[12:13]
	v_fma_f64 v[14:15], v[2:3], v[10:11], -v[6:7]
	v_fmac_f64_e32 v[16:17], v[4:5], v[10:11]
	global_load_dwordx4 v[10:13], v18, s[0:1] offset:2688
	ds_read_b128 v[2:5], v74 offset:2688
	ds_write_b128 v74, v[14:17] offset:11200
	s_waitcnt vmcnt(0) lgkmcnt(1)
	v_mul_f64 v[6:7], v[4:5], v[12:13]
	v_mul_f64 v[16:17], v[2:3], v[12:13]
	v_fma_f64 v[14:15], v[2:3], v[10:11], -v[6:7]
	v_fmac_f64_e32 v[16:17], v[4:5], v[10:11]
	global_load_dwordx4 v[10:13], v[0:1], off offset:3904
	ds_read_b128 v[2:5], v74 offset:12096
	ds_write_b128 v74, v[14:17] offset:2688
	s_waitcnt vmcnt(0) lgkmcnt(1)
	v_mul_f64 v[0:1], v[4:5], v[12:13]
	v_fma_f64 v[0:1], v[2:3], v[10:11], -v[0:1]
	v_mul_f64 v[2:3], v[2:3], v[12:13]
	v_fmac_f64_e32 v[2:3], v[4:5], v[10:11]
	global_load_dwordx4 v[4:7], v18, s[0:1] offset:3584
	ds_write_b128 v74, v[0:3] offset:12096
	ds_read_b128 v[0:3], v74 offset:3584
	v_add_co_u32_e32 v18, vcc, s8, v8
	s_movk_i32 s8, 0x1000
	s_nop 0
	v_addc_co_u32_e32 v19, vcc, 0, v9, vcc
	s_waitcnt vmcnt(0) lgkmcnt(0)
	v_mul_f64 v[10:11], v[2:3], v[6:7]
	v_mul_f64 v[12:13], v[0:1], v[6:7]
	v_fma_f64 v[10:11], v[0:1], v[4:5], -v[10:11]
	v_fmac_f64_e32 v[12:13], v[2:3], v[4:5]
	global_load_dwordx4 v[4:7], v[18:19], off offset:704
	ds_read_b128 v[0:3], v74 offset:12992
	ds_write_b128 v74, v[10:13] offset:3584
	s_waitcnt vmcnt(0) lgkmcnt(1)
	v_mul_f64 v[10:11], v[2:3], v[6:7]
	v_mul_f64 v[12:13], v[0:1], v[6:7]
	v_fma_f64 v[10:11], v[0:1], v[4:5], -v[10:11]
	v_fmac_f64_e32 v[12:13], v[2:3], v[4:5]
	v_add_co_u32_e32 v4, vcc, s8, v8
	ds_write_b128 v74, v[10:13] offset:12992
	s_nop 0
	v_addc_co_u32_e32 v5, vcc, 0, v9, vcc
	global_load_dwordx4 v[10:13], v[4:5], off offset:384
	ds_read_b128 v[0:3], v74 offset:4480
	s_waitcnt vmcnt(0) lgkmcnt(0)
	v_mul_f64 v[6:7], v[2:3], v[12:13]
	v_mul_f64 v[16:17], v[0:1], v[12:13]
	v_fma_f64 v[14:15], v[0:1], v[10:11], -v[6:7]
	v_fmac_f64_e32 v[16:17], v[2:3], v[10:11]
	global_load_dwordx4 v[10:13], v[18:19], off offset:1600
	ds_read_b128 v[0:3], v74 offset:13888
	ds_write_b128 v74, v[14:17] offset:4480
	s_waitcnt vmcnt(0) lgkmcnt(1)
	v_mul_f64 v[6:7], v[2:3], v[12:13]
	v_mul_f64 v[16:17], v[0:1], v[12:13]
	v_fma_f64 v[14:15], v[0:1], v[10:11], -v[6:7]
	v_fmac_f64_e32 v[16:17], v[2:3], v[10:11]
	global_load_dwordx4 v[10:13], v[4:5], off offset:1280
	ds_read_b128 v[0:3], v74 offset:5376
	ds_write_b128 v74, v[14:17] offset:13888
	;; [unrolled: 8-line block ×5, first 2 shown]
	s_waitcnt vmcnt(0) lgkmcnt(1)
	v_mul_f64 v[6:7], v[2:3], v[12:13]
	v_fma_f64 v[14:15], v[0:1], v[10:11], -v[6:7]
	v_mul_f64 v[16:17], v[0:1], v[12:13]
	v_accvgpr_read_b32 v6, a146
	v_fmac_f64_e32 v[16:17], v[2:3], v[10:11]
	global_load_dwordx4 v[10:13], v6, s[0:1]
	ds_read_b128 v[0:3], v74 offset:7168
	ds_write_b128 v74, v[14:17] offset:15680
	s_movk_i32 s0, 0x4000
	s_waitcnt vmcnt(0) lgkmcnt(1)
	v_mul_f64 v[6:7], v[2:3], v[12:13]
	v_mul_f64 v[16:17], v[0:1], v[12:13]
	v_fma_f64 v[14:15], v[0:1], v[10:11], -v[6:7]
	v_fmac_f64_e32 v[16:17], v[2:3], v[10:11]
	v_add_co_u32_e32 v10, vcc, s0, v8
	ds_write_b128 v74, v[14:17] offset:7168
	s_nop 0
	v_addc_co_u32_e32 v11, vcc, 0, v9, vcc
	global_load_dwordx4 v[12:15], v[10:11], off offset:192
	ds_read_b128 v[0:3], v74 offset:16576
	s_waitcnt vmcnt(0) lgkmcnt(0)
	v_mul_f64 v[6:7], v[2:3], v[14:15]
	v_fma_f64 v[16:17], v[0:1], v[12:13], -v[6:7]
	global_load_dwordx4 v[4:7], v[4:5], off offset:3968
	v_mul_f64 v[18:19], v[0:1], v[14:15]
	v_fmac_f64_e32 v[18:19], v[2:3], v[12:13]
	ds_read_b128 v[0:3], v74 offset:8064
	ds_write_b128 v74, v[16:19] offset:16576
	s_waitcnt vmcnt(0) lgkmcnt(1)
	v_mul_f64 v[12:13], v[2:3], v[6:7]
	v_mul_f64 v[14:15], v[0:1], v[6:7]
	v_fma_f64 v[12:13], v[0:1], v[4:5], -v[12:13]
	v_fmac_f64_e32 v[14:15], v[2:3], v[4:5]
	global_load_dwordx4 v[4:7], v[10:11], off offset:1088
	ds_read_b128 v[0:3], v74 offset:17472
	ds_write_b128 v74, v[12:15] offset:8064
	s_waitcnt vmcnt(0) lgkmcnt(1)
	v_mul_f64 v[12:13], v[2:3], v[6:7]
	v_mul_f64 v[14:15], v[0:1], v[6:7]
	v_fma_f64 v[12:13], v[0:1], v[4:5], -v[12:13]
	v_fmac_f64_e32 v[14:15], v[2:3], v[4:5]
	ds_write_b128 v74, v[12:15] offset:17472
	s_and_saveexec_b64 s[0:1], s[2:3]
	s_cbranch_execz .LBB0_17
; %bb.16:
	v_add_co_u32_e32 v4, vcc, 0x2000, v8
	ds_read_b128 v[0:3], v74 offset:8960
	s_nop 0
	v_addc_co_u32_e32 v5, vcc, 0, v9, vcc
	global_load_dwordx4 v[4:7], v[4:5], off offset:768
	s_waitcnt vmcnt(0) lgkmcnt(0)
	v_mul_f64 v[8:9], v[2:3], v[6:7]
	v_mul_f64 v[14:15], v[0:1], v[6:7]
	v_fma_f64 v[12:13], v[0:1], v[4:5], -v[8:9]
	v_fmac_f64_e32 v[14:15], v[2:3], v[4:5]
	global_load_dwordx4 v[4:7], v[10:11], off offset:1984
	ds_read_b128 v[0:3], v74 offset:18368
	ds_write_b128 v74, v[12:15] offset:8960
	s_waitcnt vmcnt(0) lgkmcnt(1)
	v_mul_f64 v[8:9], v[2:3], v[6:7]
	v_mul_f64 v[10:11], v[0:1], v[6:7]
	v_fma_f64 v[8:9], v[0:1], v[4:5], -v[8:9]
	v_fmac_f64_e32 v[10:11], v[2:3], v[4:5]
	ds_write_b128 v74, v[8:11] offset:18368
.LBB0_17:
	s_or_b64 exec, exec, s[0:1]
	s_waitcnt lgkmcnt(0)
	; wave barrier
	s_waitcnt lgkmcnt(0)
	ds_read_b128 v[64:67], v74
	ds_read_b128 v[52:55], v74 offset:896
	ds_read_b128 v[68:71], v74 offset:9408
	;; [unrolled: 1-line block ×19, first 2 shown]
	s_and_saveexec_b64 s[0:1], s[2:3]
	s_cbranch_execz .LBB0_19
; %bb.18:
	ds_read_b128 v[244:247], v74 offset:8960
	ds_read_b128 a[148:151], v74 offset:18368
.LBB0_19:
	s_or_b64 exec, exec, s[0:1]
	s_waitcnt lgkmcnt(14)
	v_add_f64 v[68:69], v[64:65], -v[68:69]
	v_add_f64 v[70:71], v[66:67], -v[70:71]
	v_fma_f64 v[64:65], v[64:65], 2.0, -v[68:69]
	v_fma_f64 v[66:67], v[66:67], 2.0, -v[70:71]
	v_add_f64 v[60:61], v[52:53], -v[60:61]
	v_add_f64 v[62:63], v[54:55], -v[62:63]
	v_accvgpr_read_b32 v72, a88
	v_fma_f64 v[52:53], v[52:53], 2.0, -v[60:61]
	v_fma_f64 v[54:55], v[54:55], 2.0, -v[62:63]
	s_waitcnt lgkmcnt(13)
	v_add_f64 v[56:57], v[252:253], -v[56:57]
	v_add_f64 v[58:59], v[254:255], -v[58:59]
	s_waitcnt lgkmcnt(0)
	; wave barrier
	s_waitcnt lgkmcnt(0)
	ds_write_b128 v72, v[64:67]
	ds_write_b128 v72, v[68:71] offset:16
	v_accvgpr_read_b32 v64, a89
	v_fma_f64 v[76:77], v[252:253], 2.0, -v[56:57]
	v_fma_f64 v[78:79], v[254:255], 2.0, -v[58:59]
	v_add_f64 v[96:97], v[44:45], -v[248:249]
	v_add_f64 v[98:99], v[46:47], -v[250:251]
	ds_write_b128 v64, v[52:55]
	ds_write_b128 v64, v[60:63] offset:16
	v_accvgpr_read_b32 v52, a90
	v_fma_f64 v[44:45], v[44:45], 2.0, -v[96:97]
	v_fma_f64 v[46:47], v[46:47], 2.0, -v[98:99]
	v_add_f64 v[48:49], v[40:41], -v[48:49]
	v_add_f64 v[50:51], v[42:43], -v[50:51]
	ds_write_b128 v52, v[76:79]
	ds_write_b128 v52, v[56:59] offset:16
	v_accvgpr_read_b32 v52, a91
	v_fma_f64 v[40:41], v[40:41], 2.0, -v[48:49]
	v_fma_f64 v[42:43], v[42:43], 2.0, -v[50:51]
	v_add_f64 v[36:37], v[28:29], -v[36:37]
	v_add_f64 v[38:39], v[30:31], -v[38:39]
	ds_write_b128 v52, v[44:47]
	ds_write_b128 v52, v[96:99] offset:16
	v_accvgpr_read_b32 v44, a93
	v_fma_f64 v[28:29], v[28:29], 2.0, -v[36:37]
	v_fma_f64 v[30:31], v[30:31], 2.0, -v[38:39]
	v_add_f64 v[32:33], v[24:25], -v[32:33]
	v_add_f64 v[34:35], v[26:27], -v[34:35]
	v_add_f64 v[100:101], v[0:1], -v[4:5]
	v_add_f64 v[102:103], v[2:3], -v[6:7]
	ds_write_b128 v44, v[40:43]
	ds_write_b128 v44, v[48:51] offset:16
	v_accvgpr_read_b32 v40, a94
	v_fma_f64 v[24:25], v[24:25], 2.0, -v[32:33]
	v_fma_f64 v[26:27], v[26:27], 2.0, -v[34:35]
	v_add_f64 v[20:21], v[12:13], -v[20:21]
	v_add_f64 v[22:23], v[14:15], -v[22:23]
	v_fma_f64 v[104:105], v[0:1], 2.0, -v[100:101]
	v_fma_f64 v[106:107], v[2:3], 2.0, -v[102:103]
	v_accvgpr_read_b32 v0, a148
	ds_write_b128 v40, v[28:31]
	ds_write_b128 v40, v[36:39] offset:16
	v_accvgpr_read_b32 v28, a95
	v_fma_f64 v[12:13], v[12:13], 2.0, -v[20:21]
	v_fma_f64 v[14:15], v[14:15], 2.0, -v[22:23]
	v_add_f64 v[16:17], v[8:9], -v[16:17]
	v_add_f64 v[18:19], v[10:11], -v[18:19]
	v_accvgpr_read_b32 v1, a149
	v_accvgpr_read_b32 v2, a150
	;; [unrolled: 1-line block ×3, first 2 shown]
	ds_write_b128 v28, v[24:27]
	ds_write_b128 v28, v[32:35] offset:16
	v_accvgpr_read_b32 v24, a96
	v_fma_f64 v[8:9], v[8:9], 2.0, -v[16:17]
	v_fma_f64 v[10:11], v[10:11], 2.0, -v[18:19]
	v_add_f64 v[4:5], v[244:245], -v[0:1]
	v_add_f64 v[6:7], v[246:247], -v[2:3]
	ds_write_b128 v24, v[12:15]
	ds_write_b128 v24, v[20:23] offset:16
	v_accvgpr_read_b32 v12, a97
	v_fma_f64 v[0:1], v[244:245], 2.0, -v[4:5]
	v_fma_f64 v[2:3], v[246:247], 2.0, -v[6:7]
	ds_write_b128 v12, v[8:11]
	ds_write_b128 v12, v[16:19] offset:16
	v_accvgpr_read_b32 v8, a98
	ds_write_b128 v8, v[104:107]
	ds_write_b128 v8, v[100:103] offset:16
	s_and_saveexec_b64 s[0:1], s[2:3]
	s_cbranch_execz .LBB0_21
; %bb.20:
	v_accvgpr_read_b32 v8, a92
	ds_write_b128 v8, v[0:3]
	ds_write_b128 v8, v[4:7] offset:16
.LBB0_21:
	s_or_b64 exec, exec, s[0:1]
	s_waitcnt lgkmcnt(0)
	; wave barrier
	s_waitcnt lgkmcnt(0)
	ds_read_b128 v[44:47], v74
	ds_read_b128 v[40:43], v74 offset:896
	ds_read_b128 v[68:71], v74 offset:9408
	;; [unrolled: 1-line block ×19, first 2 shown]
	s_and_saveexec_b64 s[0:1], s[2:3]
	s_cbranch_execz .LBB0_23
; %bb.22:
	ds_read_b128 v[0:3], v74 offset:8960
	ds_read_b128 v[4:7], v74 offset:18368
.LBB0_23:
	s_or_b64 exec, exec, s[0:1]
	s_waitcnt lgkmcnt(5)
	v_mul_f64 v[106:107], v[86:87], v[54:55]
	v_fmac_f64_e32 v[106:107], v[84:85], v[52:53]
	v_mul_f64 v[52:53], v[86:87], v[52:53]
	v_fma_f64 v[108:109], v[84:85], v[54:55], -v[52:53]
	s_waitcnt lgkmcnt(4)
	v_mul_f64 v[110:111], v[86:87], v[246:247]
	v_mul_f64 v[52:53], v[86:87], v[244:245]
	;; [unrolled: 1-line block ×4, first 2 shown]
	v_fmac_f64_e32 v[110:111], v[84:85], v[244:245]
	v_fma_f64 v[244:245], v[84:85], v[246:247], -v[52:53]
	s_waitcnt lgkmcnt(1)
	v_mul_f64 v[246:247], v[86:87], v[242:243]
	v_mul_f64 v[52:53], v[86:87], v[240:241]
	v_fmac_f64_e32 v[72:73], v[84:85], v[68:69]
	v_mul_f64 v[68:69], v[86:87], v[68:69]
	v_fmac_f64_e32 v[78:79], v[84:85], v[64:65]
	;; [unrolled: 2-line block ×3, first 2 shown]
	v_fma_f64 v[240:241], v[84:85], v[242:243], -v[52:53]
	s_waitcnt lgkmcnt(0)
	v_mul_f64 v[242:243], v[86:87], v[50:51]
	v_fma_f64 v[68:69], v[84:85], v[70:71], -v[68:69]
	v_mul_f64 v[70:71], v[86:87], v[254:255]
	v_mul_f64 v[76:77], v[86:87], v[252:253]
	v_fma_f64 v[64:65], v[84:85], v[66:67], -v[64:65]
	v_mul_f64 v[66:67], v[86:87], v[250:251]
	v_fmac_f64_e32 v[242:243], v[84:85], v[48:49]
	v_mul_f64 v[48:49], v[86:87], v[48:49]
	v_fmac_f64_e32 v[70:71], v[84:85], v[252:253]
	v_fma_f64 v[76:77], v[84:85], v[254:255], -v[76:77]
	v_fmac_f64_e32 v[66:67], v[84:85], v[248:249]
	v_mul_f64 v[96:97], v[86:87], v[248:249]
	v_mul_f64 v[102:103], v[86:87], v[58:59]
	v_fma_f64 v[248:249], v[84:85], v[50:51], -v[48:49]
	v_add_f64 v[48:49], v[44:45], -v[72:73]
	v_add_f64 v[50:51], v[46:47], -v[68:69]
	v_mul_f64 v[98:99], v[86:87], v[62:63]
	v_fmac_f64_e32 v[102:103], v[84:85], v[56:57]
	v_mul_f64 v[56:57], v[86:87], v[56:57]
	v_fma_f64 v[44:45], v[44:45], 2.0, -v[48:49]
	v_fma_f64 v[46:47], v[46:47], 2.0, -v[50:51]
	v_add_f64 v[52:53], v[40:41], -v[70:71]
	v_add_f64 v[54:55], v[42:43], -v[76:77]
	v_accvgpr_read_b32 v72, a99
	v_fma_f64 v[96:97], v[84:85], v[250:251], -v[96:97]
	v_fmac_f64_e32 v[98:99], v[84:85], v[60:61]
	v_mul_f64 v[60:61], v[86:87], v[60:61]
	v_fma_f64 v[104:105], v[84:85], v[58:59], -v[56:57]
	v_fma_f64 v[40:41], v[40:41], 2.0, -v[52:53]
	v_fma_f64 v[42:43], v[42:43], 2.0, -v[54:55]
	v_add_f64 v[56:57], v[36:37], -v[78:79]
	v_add_f64 v[58:59], v[38:39], -v[64:65]
	s_waitcnt lgkmcnt(0)
	; wave barrier
	ds_write_b128 v72, v[44:47]
	ds_write_b128 v72, v[48:51] offset:32
	v_accvgpr_read_b32 v44, a100
	v_fma_f64 v[100:101], v[84:85], v[62:63], -v[60:61]
	v_fma_f64 v[36:37], v[36:37], 2.0, -v[56:57]
	v_fma_f64 v[38:39], v[38:39], 2.0, -v[58:59]
	v_add_f64 v[60:61], v[32:33], -v[66:67]
	v_add_f64 v[62:63], v[34:35], -v[96:97]
	ds_write_b128 v44, v[40:43]
	ds_write_b128 v44, v[52:55] offset:32
	v_accvgpr_read_b32 v40, a101
	v_fma_f64 v[32:33], v[32:33], 2.0, -v[60:61]
	v_fma_f64 v[34:35], v[34:35], 2.0, -v[62:63]
	v_add_f64 v[64:65], v[28:29], -v[98:99]
	v_add_f64 v[66:67], v[30:31], -v[100:101]
	ds_write_b128 v40, v[36:39]
	ds_write_b128 v40, v[56:59] offset:32
	v_accvgpr_read_b32 v36, a102
	v_mul_f64 v[250:251], v[86:87], v[6:7]
	v_fma_f64 v[28:29], v[28:29], 2.0, -v[64:65]
	v_fma_f64 v[30:31], v[30:31], 2.0, -v[66:67]
	v_add_f64 v[68:69], v[24:25], -v[102:103]
	v_add_f64 v[70:71], v[26:27], -v[104:105]
	ds_write_b128 v36, v[32:35]
	ds_write_b128 v36, v[60:63] offset:32
	v_accvgpr_read_b32 v32, a103
	v_fmac_f64_e32 v[250:251], v[84:85], v[4:5]
	v_mul_f64 v[4:5], v[86:87], v[4:5]
	v_fma_f64 v[24:25], v[24:25], 2.0, -v[68:69]
	v_fma_f64 v[26:27], v[26:27], 2.0, -v[70:71]
	v_add_f64 v[76:77], v[20:21], -v[106:107]
	v_add_f64 v[78:79], v[22:23], -v[108:109]
	ds_write_b128 v32, v[28:31]
	ds_write_b128 v32, v[64:67] offset:32
	v_accvgpr_read_b32 v28, a104
	v_fma_f64 v[6:7], v[84:85], v[6:7], -v[4:5]
	v_fma_f64 v[20:21], v[20:21], 2.0, -v[76:77]
	v_fma_f64 v[22:23], v[22:23], 2.0, -v[78:79]
	v_add_f64 v[84:85], v[16:17], -v[110:111]
	v_add_f64 v[86:87], v[18:19], -v[244:245]
	ds_write_b128 v28, v[24:27]
	ds_write_b128 v28, v[68:71] offset:32
	v_accvgpr_read_b32 v24, a105
	v_fma_f64 v[16:17], v[16:17], 2.0, -v[84:85]
	v_fma_f64 v[18:19], v[18:19], 2.0, -v[86:87]
	v_add_f64 v[96:97], v[12:13], -v[246:247]
	v_add_f64 v[98:99], v[14:15], -v[240:241]
	ds_write_b128 v24, v[20:23]
	ds_write_b128 v24, v[76:79] offset:32
	v_accvgpr_read_b32 v20, a106
	v_fma_f64 v[12:13], v[12:13], 2.0, -v[96:97]
	v_fma_f64 v[14:15], v[14:15], 2.0, -v[98:99]
	v_add_f64 v[100:101], v[8:9], -v[242:243]
	v_add_f64 v[102:103], v[10:11], -v[248:249]
	;; [unrolled: 1-line block ×4, first 2 shown]
	ds_write_b128 v20, v[16:19]
	ds_write_b128 v20, v[84:87] offset:32
	v_accvgpr_read_b32 v16, a107
	v_fma_f64 v[8:9], v[8:9], 2.0, -v[100:101]
	v_fma_f64 v[10:11], v[10:11], 2.0, -v[102:103]
	v_fma_f64 v[0:1], v[0:1], 2.0, -v[4:5]
	v_fma_f64 v[2:3], v[2:3], 2.0, -v[6:7]
	ds_write_b128 v16, v[12:15]
	ds_write_b128 v16, v[96:99] offset:32
	v_accvgpr_read_b32 v12, a108
	ds_write_b128 v12, v[8:11]
	ds_write_b128 v12, v[100:103] offset:32
	s_and_saveexec_b64 s[0:1], s[2:3]
	s_cbranch_execz .LBB0_25
; %bb.24:
	s_movk_i32 s8, 0x4fc
	v_accvgpr_read_b32 v8, a9
	v_accvgpr_read_b32 v9, a86
	v_and_or_b32 v8, v8, s8, v9
	v_lshlrev_b32_e32 v8, 4, v8
	ds_write_b128 v8, v[0:3]
	ds_write_b128 v8, v[4:7] offset:32
.LBB0_25:
	s_or_b64 exec, exec, s[0:1]
	s_waitcnt lgkmcnt(0)
	; wave barrier
	s_waitcnt lgkmcnt(0)
	ds_read_b128 v[44:47], v74
	ds_read_b128 v[40:43], v74 offset:896
	ds_read_b128 v[68:71], v74 offset:9408
	;; [unrolled: 1-line block ×19, first 2 shown]
	s_and_saveexec_b64 s[0:1], s[2:3]
	s_cbranch_execz .LBB0_27
; %bb.26:
	ds_read_b128 v[0:3], v74 offset:8960
	ds_read_b128 v[4:7], v74 offset:18368
.LBB0_27:
	s_or_b64 exec, exec, s[0:1]
	s_waitcnt lgkmcnt(13)
	v_mul_f64 v[78:79], v[82:83], v[66:67]
	v_mul_f64 v[72:73], v[82:83], v[70:71]
	v_fmac_f64_e32 v[78:79], v[80:81], v[64:65]
	v_mul_f64 v[64:65], v[82:83], v[64:65]
	s_waitcnt lgkmcnt(12)
	v_mul_f64 v[96:97], v[82:83], v[244:245]
	s_waitcnt lgkmcnt(5)
	v_mul_f64 v[106:107], v[82:83], v[54:55]
	v_fmac_f64_e32 v[72:73], v[80:81], v[68:69]
	v_mul_f64 v[68:69], v[82:83], v[68:69]
	v_fma_f64 v[64:65], v[80:81], v[66:67], -v[64:65]
	v_mul_f64 v[66:67], v[82:83], v[246:247]
	v_fma_f64 v[96:97], v[80:81], v[246:247], -v[96:97]
	v_fmac_f64_e32 v[106:107], v[80:81], v[52:53]
	v_mul_f64 v[52:53], v[82:83], v[52:53]
	s_waitcnt lgkmcnt(0)
	v_mul_f64 v[246:247], v[82:83], v[50:51]
	v_fma_f64 v[68:69], v[80:81], v[70:71], -v[68:69]
	v_mul_f64 v[70:71], v[82:83], v[250:251]
	v_mul_f64 v[76:77], v[82:83], v[248:249]
	v_fma_f64 v[108:109], v[80:81], v[54:55], -v[52:53]
	v_mul_f64 v[110:111], v[82:83], v[242:243]
	v_mul_f64 v[52:53], v[82:83], v[240:241]
	v_fmac_f64_e32 v[246:247], v[80:81], v[48:49]
	v_mul_f64 v[48:49], v[82:83], v[48:49]
	v_fmac_f64_e32 v[70:71], v[80:81], v[248:249]
	v_fma_f64 v[76:77], v[80:81], v[250:251], -v[76:77]
	v_mul_f64 v[102:103], v[82:83], v[58:59]
	v_fmac_f64_e32 v[110:111], v[80:81], v[240:241]
	v_fma_f64 v[240:241], v[80:81], v[242:243], -v[52:53]
	v_mul_f64 v[52:53], v[82:83], v[84:85]
	v_fma_f64 v[248:249], v[80:81], v[50:51], -v[48:49]
	v_add_f64 v[48:49], v[44:45], -v[72:73]
	v_add_f64 v[50:51], v[46:47], -v[68:69]
	v_fmac_f64_e32 v[66:67], v[80:81], v[244:245]
	v_mul_f64 v[98:99], v[82:83], v[62:63]
	v_fmac_f64_e32 v[102:103], v[80:81], v[56:57]
	v_mul_f64 v[56:57], v[82:83], v[56:57]
	v_fma_f64 v[244:245], v[80:81], v[86:87], -v[52:53]
	v_fma_f64 v[44:45], v[44:45], 2.0, -v[48:49]
	v_fma_f64 v[46:47], v[46:47], 2.0, -v[50:51]
	v_add_f64 v[52:53], v[40:41], -v[70:71]
	v_add_f64 v[54:55], v[42:43], -v[76:77]
	v_accvgpr_read_b32 v72, a109
	v_fmac_f64_e32 v[98:99], v[80:81], v[60:61]
	v_mul_f64 v[60:61], v[82:83], v[60:61]
	v_fma_f64 v[104:105], v[80:81], v[58:59], -v[56:57]
	v_fma_f64 v[40:41], v[40:41], 2.0, -v[52:53]
	v_fma_f64 v[42:43], v[42:43], 2.0, -v[54:55]
	v_add_f64 v[56:57], v[36:37], -v[78:79]
	v_add_f64 v[58:59], v[38:39], -v[64:65]
	s_waitcnt lgkmcnt(0)
	; wave barrier
	ds_write_b128 v72, v[44:47]
	ds_write_b128 v72, v[48:51] offset:64
	v_accvgpr_read_b32 v44, a110
	v_fma_f64 v[100:101], v[80:81], v[62:63], -v[60:61]
	v_fma_f64 v[36:37], v[36:37], 2.0, -v[56:57]
	v_fma_f64 v[38:39], v[38:39], 2.0, -v[58:59]
	v_add_f64 v[60:61], v[32:33], -v[66:67]
	v_add_f64 v[62:63], v[34:35], -v[96:97]
	ds_write_b128 v44, v[40:43]
	ds_write_b128 v44, v[52:55] offset:64
	v_accvgpr_read_b32 v40, a111
	v_fma_f64 v[32:33], v[32:33], 2.0, -v[60:61]
	v_fma_f64 v[34:35], v[34:35], 2.0, -v[62:63]
	v_add_f64 v[64:65], v[28:29], -v[98:99]
	v_add_f64 v[66:67], v[30:31], -v[100:101]
	ds_write_b128 v40, v[36:39]
	ds_write_b128 v40, v[56:59] offset:64
	v_accvgpr_read_b32 v36, a112
	;; [unrolled: 7-line block ×3, first 2 shown]
	v_mul_f64 v[242:243], v[82:83], v[86:87]
	v_fma_f64 v[24:25], v[24:25], 2.0, -v[68:69]
	v_fma_f64 v[26:27], v[26:27], 2.0, -v[70:71]
	v_add_f64 v[76:77], v[20:21], -v[106:107]
	v_add_f64 v[78:79], v[22:23], -v[108:109]
	ds_write_b128 v32, v[28:31]
	ds_write_b128 v32, v[64:67] offset:64
	v_accvgpr_read_b32 v28, a114
	v_fmac_f64_e32 v[242:243], v[80:81], v[84:85]
	v_fma_f64 v[20:21], v[20:21], 2.0, -v[76:77]
	v_fma_f64 v[22:23], v[22:23], 2.0, -v[78:79]
	v_add_f64 v[84:85], v[16:17], -v[110:111]
	v_add_f64 v[86:87], v[18:19], -v[240:241]
	ds_write_b128 v28, v[24:27]
	ds_write_b128 v28, v[68:71] offset:64
	v_accvgpr_read_b32 v24, a115
	v_fma_f64 v[16:17], v[16:17], 2.0, -v[84:85]
	v_fma_f64 v[18:19], v[18:19], 2.0, -v[86:87]
	v_add_f64 v[96:97], v[12:13], -v[242:243]
	v_add_f64 v[98:99], v[14:15], -v[244:245]
	ds_write_b128 v24, v[20:23]
	ds_write_b128 v24, v[76:79] offset:64
	v_accvgpr_read_b32 v20, a116
	;; [unrolled: 7-line block ×3, first 2 shown]
	v_fma_f64 v[8:9], v[8:9], 2.0, -v[100:101]
	v_fma_f64 v[10:11], v[10:11], 2.0, -v[102:103]
	ds_write_b128 v16, v[12:15]
	ds_write_b128 v16, v[96:99] offset:64
	v_accvgpr_read_b32 v12, a118
	ds_write_b128 v12, v[8:11]
	ds_write_b128 v12, v[100:103] offset:64
	s_and_saveexec_b64 s[0:1], s[2:3]
	s_cbranch_execz .LBB0_29
; %bb.28:
	v_mul_f64 v[8:9], v[82:83], v[4:5]
	v_fma_f64 v[8:9], v[80:81], v[6:7], -v[8:9]
	v_mul_f64 v[6:7], v[82:83], v[6:7]
	v_fmac_f64_e32 v[6:7], v[80:81], v[4:5]
	s_movk_i32 s8, 0x4f8
	v_accvgpr_read_b32 v4, a9
	v_accvgpr_read_b32 v5, a87
	v_add_f64 v[8:9], v[2:3], -v[8:9]
	v_add_f64 v[6:7], v[0:1], -v[6:7]
	v_and_or_b32 v4, v4, s8, v5
	v_fma_f64 v[2:3], v[2:3], 2.0, -v[8:9]
	v_fma_f64 v[0:1], v[0:1], 2.0, -v[6:7]
	v_lshlrev_b32_e32 v4, 4, v4
	ds_write_b128 v4, v[0:3]
	ds_write_b128 v4, v[6:9] offset:64
.LBB0_29:
	s_or_b64 exec, exec, s[0:1]
	s_waitcnt lgkmcnt(0)
	; wave barrier
	s_waitcnt lgkmcnt(0)
	ds_read_b128 v[4:7], v74 offset:6272
	ds_read_b128 v[0:3], v74 offset:5376
	s_mov_b32 s0, 0xe8584caa
	s_mov_b32 s1, 0xbfebb67a
	;; [unrolled: 1-line block ×3, first 2 shown]
	s_waitcnt lgkmcnt(1)
	v_mul_f64 v[64:65], v[94:95], v[6:7]
	v_fmac_f64_e32 v[64:65], v[92:93], v[4:5]
	v_mul_f64 v[4:5], v[94:95], v[4:5]
	v_fma_f64 v[66:67], v[92:93], v[6:7], -v[4:5]
	ds_read_b128 v[4:7], v74 offset:7168
	ds_read_b128 v[8:11], v74 offset:8064
	s_mov_b32 s8, s0
	s_mov_b32 s16, 0x37e14327
	s_mov_b32 s17, 0x3fe948f6
	s_waitcnt lgkmcnt(1)
	v_mul_f64 v[56:57], v[94:95], v[6:7]
	v_fmac_f64_e32 v[56:57], v[92:93], v[4:5]
	v_mul_f64 v[4:5], v[94:95], v[4:5]
	v_fma_f64 v[60:61], v[92:93], v[6:7], -v[4:5]
	s_waitcnt lgkmcnt(0)
	v_mul_f64 v[50:51], v[94:95], v[10:11]
	v_mul_f64 v[4:5], v[94:95], v[8:9]
	v_fmac_f64_e32 v[50:51], v[92:93], v[8:9]
	v_fma_f64 v[54:55], v[92:93], v[10:11], -v[4:5]
	ds_read_b128 v[4:7], v74 offset:8960
	ds_read_b128 v[8:11], v74 offset:9856
	s_mov_b32 s12, 0x5476071b
	s_mov_b32 s13, 0x3fe77f67
	s_mov_b32 s15, 0xbfe77f67
	s_waitcnt lgkmcnt(1)
	v_mul_f64 v[42:43], v[94:95], v[6:7]
	v_fmac_f64_e32 v[42:43], v[92:93], v[4:5]
	v_mul_f64 v[4:5], v[94:95], v[4:5]
	v_fma_f64 v[46:47], v[92:93], v[6:7], -v[4:5]
	s_waitcnt lgkmcnt(0)
	v_mul_f64 v[36:37], v[94:95], v[10:11]
	v_mul_f64 v[4:5], v[94:95], v[8:9]
	v_fmac_f64_e32 v[36:37], v[92:93], v[8:9]
	;; [unrolled: 15-line block ×5, first 2 shown]
	v_fma_f64 v[70:71], v[88:89], v[10:11], -v[4:5]
	ds_read_b128 v[4:7], v74 offset:16128
	ds_read_b128 v[8:11], v74 offset:17024
	s_mov_b32 s22, 0x37c3f68c
	s_mov_b32 s23, 0xbfdc38aa
	s_waitcnt lgkmcnt(1)
	v_mul_f64 v[58:59], v[90:91], v[6:7]
	v_fmac_f64_e32 v[58:59], v[88:89], v[4:5]
	v_mul_f64 v[4:5], v[90:91], v[4:5]
	v_fma_f64 v[62:63], v[88:89], v[6:7], -v[4:5]
	s_waitcnt lgkmcnt(0)
	v_mul_f64 v[4:5], v[90:91], v[8:9]
	v_fma_f64 v[52:53], v[88:89], v[10:11], -v[4:5]
	ds_read_b128 v[4:7], v74 offset:17920
	ds_read_b128 v[24:27], v74
	ds_read_b128 v[20:23], v74 offset:896
	v_mul_f64 v[48:49], v[90:91], v[10:11]
	v_fmac_f64_e32 v[48:49], v[88:89], v[8:9]
	s_waitcnt lgkmcnt(2)
	v_mul_f64 v[40:41], v[90:91], v[6:7]
	v_fmac_f64_e32 v[40:41], v[88:89], v[4:5]
	v_mul_f64 v[4:5], v[90:91], v[4:5]
	v_fma_f64 v[44:45], v[88:89], v[6:7], -v[4:5]
	s_waitcnt lgkmcnt(1)
	v_add_f64 v[4:5], v[24:25], v[64:65]
	v_add_f64 v[86:87], v[4:5], v[82:83]
	;; [unrolled: 1-line block ×4, first 2 shown]
	v_accvgpr_read_b32 v90, a137
	ds_read_b128 v[16:19], v74 offset:1792
	ds_read_b128 v[12:15], v74 offset:2688
	;; [unrolled: 1-line block ×4, first 2 shown]
	s_waitcnt lgkmcnt(0)
	; wave barrier
	s_waitcnt lgkmcnt(0)
	ds_write_b128 v90, v[86:89]
	v_add_f64 v[86:87], v[64:65], v[82:83]
	v_fmac_f64_e32 v[24:25], -0.5, v[86:87]
	v_add_f64 v[86:87], v[66:67], -v[84:85]
	v_add_f64 v[66:67], v[66:67], v[84:85]
	v_fmac_f64_e32 v[26:27], -0.5, v[66:67]
	v_add_f64 v[82:83], v[64:65], -v[82:83]
	v_fma_f64 v[64:65], s[0:1], v[86:87], v[24:25]
	v_fma_f64 v[66:67], s[8:9], v[82:83], v[26:27]
	v_fmac_f64_e32 v[24:25], s[8:9], v[86:87]
	v_fmac_f64_e32 v[26:27], s[0:1], v[82:83]
	ds_write_b128 v90, v[24:27] offset:256
	v_add_f64 v[24:25], v[20:21], v[56:57]
	v_add_f64 v[26:27], v[22:23], v[60:61]
	ds_write_b128 v90, v[64:67] offset:128
	v_add_f64 v[24:25], v[24:25], v[78:79]
	v_add_f64 v[26:27], v[26:27], v[80:81]
	v_accvgpr_read_b32 v66, a136
	ds_write_b128 v66, v[24:27]
	v_add_f64 v[24:25], v[56:57], v[78:79]
	v_fmac_f64_e32 v[20:21], -0.5, v[24:25]
	v_add_f64 v[24:25], v[60:61], v[80:81]
	v_add_f64 v[64:65], v[60:61], -v[80:81]
	v_fmac_f64_e32 v[22:23], -0.5, v[24:25]
	v_add_f64 v[56:57], v[56:57], -v[78:79]
	v_fma_f64 v[24:25], s[0:1], v[64:65], v[20:21]
	v_fma_f64 v[26:27], s[8:9], v[56:57], v[22:23]
	v_fmac_f64_e32 v[20:21], s[8:9], v[64:65]
	v_fmac_f64_e32 v[22:23], s[0:1], v[56:57]
	ds_write_b128 v66, v[20:23] offset:256
	v_add_f64 v[20:21], v[16:17], v[50:51]
	v_add_f64 v[22:23], v[18:19], v[54:55]
	v_add_f64 v[20:21], v[20:21], v[72:73]
	v_add_f64 v[22:23], v[22:23], v[76:77]
	v_accvgpr_read_b32 v56, a127
	ds_write_b128 v66, v[24:27] offset:128
	ds_write_b128 v56, v[20:23]
	v_add_f64 v[20:21], v[50:51], v[72:73]
	v_fmac_f64_e32 v[16:17], -0.5, v[20:21]
	v_add_f64 v[20:21], v[54:55], v[76:77]
	v_add_f64 v[24:25], v[54:55], -v[76:77]
	v_fmac_f64_e32 v[18:19], -0.5, v[20:21]
	v_add_f64 v[26:27], v[50:51], -v[72:73]
	v_fma_f64 v[20:21], s[0:1], v[24:25], v[16:17]
	v_fma_f64 v[22:23], s[8:9], v[26:27], v[18:19]
	v_fmac_f64_e32 v[16:17], s[8:9], v[24:25]
	v_fmac_f64_e32 v[18:19], s[0:1], v[26:27]
	ds_write_b128 v56, v[16:19] offset:256
	v_add_f64 v[16:17], v[12:13], v[42:43]
	v_add_f64 v[18:19], v[14:15], v[46:47]
	v_add_f64 v[16:17], v[16:17], v[68:69]
	v_add_f64 v[18:19], v[18:19], v[70:71]
	v_accvgpr_read_b32 v24, a126
	ds_write_b128 v56, v[20:23] offset:128
	;; [unrolled: 18-line block ×4, first 2 shown]
	ds_write_b128 v18, v[8:11]
	v_add_f64 v[8:9], v[32:33], v[48:49]
	v_fmac_f64_e32 v[4:5], -0.5, v[8:9]
	v_add_f64 v[8:9], v[34:35], v[52:53]
	v_add_f64 v[12:13], v[34:35], -v[52:53]
	v_fmac_f64_e32 v[6:7], -0.5, v[8:9]
	v_add_f64 v[14:15], v[32:33], -v[48:49]
	v_fma_f64 v[8:9], s[0:1], v[12:13], v[4:5]
	v_fma_f64 v[10:11], s[8:9], v[14:15], v[6:7]
	ds_write_b128 v18, v[8:11] offset:128
	v_add_f64 v[8:9], v[28:29], v[40:41]
	v_fmac_f64_e32 v[4:5], s[8:9], v[12:13]
	v_add_f64 v[10:11], v[0:1], v[28:29]
	v_fmac_f64_e32 v[0:1], -0.5, v[8:9]
	v_add_f64 v[12:13], v[30:31], -v[44:45]
	v_fma_f64 v[8:9], s[0:1], v[12:13], v[0:1]
	v_fmac_f64_e32 v[0:1], s[8:9], v[12:13]
	v_add_f64 v[12:13], v[10:11], v[40:41]
	v_add_f64 v[10:11], v[2:3], v[30:31]
	v_fmac_f64_e32 v[6:7], s[0:1], v[14:15]
	v_add_f64 v[14:15], v[10:11], v[44:45]
	v_add_f64 v[10:11], v[30:31], v[44:45]
	v_fmac_f64_e32 v[2:3], -0.5, v[10:11]
	v_add_f64 v[16:17], v[28:29], -v[40:41]
	v_fma_f64 v[10:11], s[8:9], v[16:17], v[2:3]
	v_fmac_f64_e32 v[2:3], s[0:1], v[16:17]
	ds_write_b128 v18, v[4:7] offset:256
	v_accvgpr_read_b32 v4, a119
	ds_write_b128 v4, v[12:15]
	ds_write_b128 v4, v[8:11] offset:128
	ds_write_b128 v4, v[0:3] offset:256
	s_waitcnt lgkmcnt(0)
	; wave barrier
	s_waitcnt lgkmcnt(0)
	ds_read_b128 v[4:7], v74 offset:2688
	ds_read_b128 v[0:3], v74 offset:1792
	v_accvgpr_read_b32 v12, a138
	v_accvgpr_read_b32 v14, a140
	;; [unrolled: 1-line block ×3, first 2 shown]
	ds_read_b128 v[8:11], v74 offset:5376
	v_accvgpr_read_b32 v13, a139
	s_waitcnt lgkmcnt(2)
	v_mul_f64 v[86:87], v[14:15], v[6:7]
	v_fmac_f64_e32 v[86:87], v[12:13], v[4:5]
	v_mul_f64 v[4:5], v[14:15], v[4:5]
	v_fma_f64 v[88:89], v[12:13], v[6:7], -v[4:5]
	ds_read_b128 v[4:7], v74 offset:6272
	v_accvgpr_read_b32 v12, a132
	v_accvgpr_read_b32 v14, a134
	v_accvgpr_read_b32 v15, a135
	v_accvgpr_read_b32 v13, a133
	s_waitcnt lgkmcnt(1)
	v_mul_f64 v[90:91], v[14:15], v[10:11]
	v_fmac_f64_e32 v[90:91], v[12:13], v[8:9]
	v_mul_f64 v[8:9], v[14:15], v[8:9]
	v_fma_f64 v[92:93], v[12:13], v[10:11], -v[8:9]
	ds_read_b128 v[8:11], v74 offset:8064
	ds_read_b128 v[12:15], v74 offset:7168
	v_accvgpr_read_b32 v16, a128
	v_accvgpr_read_b32 v18, a130
	v_accvgpr_read_b32 v19, a131
	v_accvgpr_read_b32 v17, a129
	s_waitcnt lgkmcnt(1)
	v_mul_f64 v[94:95], v[18:19], v[10:11]
	v_fmac_f64_e32 v[94:95], v[16:17], v[8:9]
	v_mul_f64 v[8:9], v[18:19], v[8:9]
	v_fma_f64 v[96:97], v[16:17], v[10:11], -v[8:9]
	ds_read_b128 v[8:11], v74 offset:10752
	;; [unrolled: 11-line block ×3, first 2 shown]
	ds_read_b128 v[20:23], v74 offset:12544
	v_accvgpr_read_b32 v28, a142
	v_accvgpr_read_b32 v30, a144
	;; [unrolled: 1-line block ×3, first 2 shown]
	s_waitcnt lgkmcnt(1)
	v_mul_f64 v[102:103], v[118:119], v[10:11]
	v_fmac_f64_e32 v[102:103], v[116:117], v[8:9]
	v_mul_f64 v[8:9], v[118:119], v[8:9]
	v_fma_f64 v[104:105], v[116:117], v[10:11], -v[8:9]
	ds_read_b128 v[8:11], v74 offset:16128
	ds_read_b128 v[24:27], v74 offset:17024
	v_accvgpr_read_b32 v29, a143
	v_mul_f64 v[40:41], v[130:131], v[6:7]
	v_fmac_f64_e32 v[40:41], v[128:129], v[4:5]
	s_waitcnt lgkmcnt(1)
	v_mul_f64 v[106:107], v[30:31], v[10:11]
	v_fmac_f64_e32 v[106:107], v[28:29], v[8:9]
	v_mul_f64 v[8:9], v[30:31], v[8:9]
	v_fma_f64 v[108:109], v[28:29], v[10:11], -v[8:9]
	ds_read_b128 v[8:11], v74 offset:3584
	ds_read_b128 v[28:31], v74 offset:4480
	v_mul_f64 v[4:5], v[130:131], v[4:5]
	v_fma_f64 v[42:43], v[128:129], v[6:7], -v[4:5]
	v_mul_f64 v[48:49], v[122:123], v[18:19]
	s_waitcnt lgkmcnt(1)
	v_mul_f64 v[36:37], v[134:135], v[10:11]
	v_fmac_f64_e32 v[36:37], v[132:133], v[8:9]
	v_mul_f64 v[8:9], v[134:135], v[8:9]
	v_fma_f64 v[38:39], v[132:133], v[10:11], -v[8:9]
	ds_read_b128 v[4:7], v74 offset:8960
	ds_read_b128 v[8:11], v74 offset:9856
	v_fmac_f64_e32 v[48:49], v[120:121], v[16:17]
	v_mul_f64 v[56:57], v[154:155], v[14:15]
	v_fmac_f64_e32 v[56:57], v[152:153], v[12:13]
	s_waitcnt lgkmcnt(1)
	v_mul_f64 v[44:45], v[126:127], v[6:7]
	v_fmac_f64_e32 v[44:45], v[124:125], v[4:5]
	v_mul_f64 v[4:5], v[126:127], v[4:5]
	v_fma_f64 v[46:47], v[124:125], v[6:7], -v[4:5]
	v_mul_f64 v[4:5], v[122:123], v[16:17]
	v_fma_f64 v[50:51], v[120:121], v[18:19], -v[4:5]
	ds_read_b128 v[4:7], v74 offset:14336
	ds_read_b128 v[16:19], v74 offset:15232
	s_waitcnt lgkmcnt(2)
	v_mul_f64 v[60:61], v[150:151], v[10:11]
	v_fmac_f64_e32 v[60:61], v[148:149], v[8:9]
	v_mul_f64 v[64:65], v[146:147], v[22:23]
	s_waitcnt lgkmcnt(1)
	v_mul_f64 v[78:79], v[142:143], v[6:7]
	v_fmac_f64_e32 v[78:79], v[140:141], v[4:5]
	v_mul_f64 v[4:5], v[142:143], v[4:5]
	v_fma_f64 v[80:81], v[140:141], v[6:7], -v[4:5]
	v_mul_f64 v[4:5], v[138:139], v[24:25]
	v_fma_f64 v[84:85], v[136:137], v[26:27], -v[4:5]
	;; [unrolled: 2-line block ×6, first 2 shown]
	ds_read_b128 v[4:7], v74 offset:17920
	s_waitcnt lgkmcnt(1)
	v_mul_f64 v[8:9], v[174:175], v[16:17]
	v_mul_f64 v[68:69], v[174:175], v[18:19]
	v_fma_f64 v[70:71], v[172:173], v[18:19], -v[8:9]
	v_add_f64 v[8:9], v[86:87], v[106:107]
	s_waitcnt lgkmcnt(0)
	v_mul_f64 v[72:73], v[162:163], v[6:7]
	v_fmac_f64_e32 v[72:73], v[160:161], v[4:5]
	v_mul_f64 v[4:5], v[162:163], v[4:5]
	v_add_f64 v[12:13], v[90:91], v[102:103]
	v_fmac_f64_e32 v[68:69], v[172:173], v[16:17]
	v_fma_f64 v[76:77], v[160:161], v[6:7], -v[4:5]
	v_add_f64 v[10:11], v[88:89], v[108:109]
	v_add_f64 v[14:15], v[92:93], v[104:105]
	;; [unrolled: 1-line block ×4, first 2 shown]
	v_fmac_f64_e32 v[64:65], v[144:145], v[20:21]
	v_add_f64 v[18:19], v[96:97], v[100:101]
	v_add_f64 v[20:21], v[16:17], v[4:5]
	;; [unrolled: 1-line block ×4, first 2 shown]
	ds_read_b128 v[4:7], v74
	ds_read_b128 v[32:35], v74 offset:896
	v_mul_f64 v[82:83], v[138:139], v[26:27]
	v_mul_f64 v[52:53], v[158:159], v[30:31]
	v_fmac_f64_e32 v[82:83], v[136:137], v[24:25]
	v_fmac_f64_e32 v[52:53], v[156:157], v[28:29]
	v_add_f64 v[24:25], v[86:87], -v[106:107]
	v_add_f64 v[28:29], v[90:91], -v[102:103]
	;; [unrolled: 1-line block ×12, first 2 shown]
	v_add_f64 v[18:19], v[86:87], v[28:29]
	s_waitcnt lgkmcnt(1)
	v_add_f64 v[4:5], v[4:5], v[20:21]
	v_add_f64 v[92:93], v[86:87], -v[28:29]
	v_add_f64 v[86:87], v[24:25], -v[86:87]
	;; [unrolled: 1-line block ×3, first 2 shown]
	v_add_f64 v[18:19], v[18:19], v[24:25]
	v_add_f64 v[24:25], v[88:89], v[30:31]
	s_mov_b32 s0, 0xaaaaaaaa
	v_add_f64 v[6:7], v[6:7], v[22:23]
	v_add_f64 v[94:95], v[88:89], -v[30:31]
	v_add_f64 v[88:89], v[26:27], -v[88:89]
	v_add_f64 v[30:31], v[30:31], -v[26:27]
	v_add_f64 v[24:25], v[24:25], v[26:27]
	s_mov_b32 s1, 0xbff2aaaa
	v_mov_b64_e32 v[26:27], v[4:5]
	s_mov_b32 s8, 0x36b3c0b5
	v_fmac_f64_e32 v[26:27], s[0:1], v[20:21]
	v_mov_b64_e32 v[20:21], v[6:7]
	s_mov_b32 s9, 0x3fac98ee
	v_fmac_f64_e32 v[20:21], s[0:1], v[22:23]
	v_mul_f64 v[8:9], v[8:9], s[16:17]
	v_mul_f64 v[22:23], v[12:13], s[8:9]
	v_fma_f64 v[22:23], v[90:91], s[12:13], -v[22:23]
	v_fma_f64 v[90:91], v[90:91], s[14:15], -v[8:9]
	v_fmac_f64_e32 v[8:9], s[8:9], v[12:13]
	v_mul_f64 v[10:11], v[10:11], s[16:17]
	v_mul_f64 v[12:13], v[14:15], s[8:9]
	v_fma_f64 v[12:13], v[16:17], s[12:13], -v[12:13]
	v_fma_f64 v[16:17], v[16:17], s[14:15], -v[10:11]
	v_fmac_f64_e32 v[10:11], s[8:9], v[14:15]
	v_mul_f64 v[92:93], v[92:93], s[26:27]
	v_mul_f64 v[14:15], v[28:29], s[20:21]
	v_fma_f64 v[28:29], v[28:29], s[20:21], -v[92:93]
	v_fmac_f64_e32 v[92:93], s[18:19], v[86:87]
	v_fma_f64 v[86:87], v[86:87], s[24:25], -v[14:15]
	v_mul_f64 v[94:95], v[94:95], s[26:27]
	v_mul_f64 v[14:15], v[30:31], s[20:21]
	v_fma_f64 v[30:31], v[30:31], s[20:21], -v[94:95]
	v_fmac_f64_e32 v[94:95], s[18:19], v[88:89]
	v_fma_f64 v[88:89], v[88:89], s[24:25], -v[14:15]
	v_add_f64 v[96:97], v[8:9], v[26:27]
	v_add_f64 v[14:15], v[22:23], v[26:27]
	v_add_f64 v[22:23], v[90:91], v[26:27]
	v_add_f64 v[90:91], v[10:11], v[20:21]
	v_add_f64 v[26:27], v[12:13], v[20:21]
	v_add_f64 v[20:21], v[16:17], v[20:21]
	v_fmac_f64_e32 v[28:29], s[22:23], v[18:19]
	v_fmac_f64_e32 v[30:31], s[22:23], v[24:25]
	;; [unrolled: 1-line block ×6, first 2 shown]
	v_add_f64 v[8:9], v[14:15], -v[30:31]
	v_add_f64 v[10:11], v[28:29], v[26:27]
	v_add_f64 v[12:13], v[30:31], v[14:15]
	v_add_f64 v[14:15], v[26:27], -v[28:29]
	v_add_f64 v[24:25], v[88:89], v[22:23]
	v_add_f64 v[26:27], v[20:21], -v[86:87]
	v_add_f64 v[16:17], v[22:23], -v[88:89]
	v_add_f64 v[18:19], v[86:87], v[20:21]
	v_add_f64 v[86:87], v[36:37], v[82:83]
	;; [unrolled: 1-line block ×4, first 2 shown]
	v_add_f64 v[30:31], v[90:91], -v[92:93]
	v_add_f64 v[20:21], v[96:97], -v[94:95]
	v_add_f64 v[22:23], v[92:93], v[90:91]
	v_add_f64 v[90:91], v[44:45], v[48:49]
	;; [unrolled: 1-line block ×5, first 2 shown]
	v_add_f64 v[40:41], v[40:41], -v[78:79]
	v_add_f64 v[44:45], v[48:49], -v[44:45]
	v_add_f64 v[92:93], v[90:91], v[92:93]
	v_add_f64 v[98:99], v[46:47], v[50:51]
	v_add_f64 v[100:101], v[96:97], v[94:95]
	v_add_f64 v[36:37], v[36:37], -v[82:83]
	v_add_f64 v[42:43], v[42:43], -v[80:81]
	;; [unrolled: 1-line block ×6, first 2 shown]
	v_add_f64 v[86:87], v[44:45], v[40:41]
	v_add_f64 v[100:101], v[98:99], v[100:101]
	s_waitcnt lgkmcnt(0)
	v_add_f64 v[32:33], v[32:33], v[92:93]
	v_add_f64 v[38:39], v[38:39], -v[84:85]
	v_add_f64 v[80:81], v[96:97], -v[94:95]
	;; [unrolled: 1-line block ×7, first 2 shown]
	v_add_f64 v[36:37], v[86:87], v[36:37]
	v_add_f64 v[86:87], v[46:47], v[42:43]
	v_mul_f64 v[50:51], v[50:51], s[16:17]
	v_mul_f64 v[94:95], v[78:79], s[8:9]
	v_add_f64 v[34:35], v[34:35], v[100:101]
	v_add_f64 v[90:91], v[46:47], -v[42:43]
	v_add_f64 v[46:47], v[38:39], -v[46:47]
	v_add_f64 v[42:43], v[42:43], -v[38:39]
	v_add_f64 v[38:39], v[86:87], v[38:39]
	v_mov_b64_e32 v[86:87], v[32:33]
	v_fma_f64 v[94:95], v[48:49], s[12:13], -v[94:95]
	v_fma_f64 v[48:49], v[48:49], s[14:15], -v[50:51]
	v_fmac_f64_e32 v[50:51], s[8:9], v[78:79]
	v_mul_f64 v[78:79], v[82:83], s[16:17]
	v_mul_f64 v[82:83], v[84:85], s[8:9]
	;; [unrolled: 1-line block ×3, first 2 shown]
	v_fmac_f64_e32 v[86:87], s[0:1], v[92:93]
	v_mov_b64_e32 v[92:93], v[34:35]
	v_fma_f64 v[82:83], v[80:81], s[12:13], -v[82:83]
	v_fma_f64 v[80:81], v[80:81], s[14:15], -v[78:79]
	v_fmac_f64_e32 v[78:79], s[8:9], v[84:85]
	v_mul_f64 v[84:85], v[40:41], s[20:21]
	v_fma_f64 v[96:97], v[40:41], s[20:21], -v[88:89]
	v_mul_f64 v[90:91], v[90:91], s[26:27]
	v_mul_f64 v[40:41], v[42:43], s[20:21]
	v_fmac_f64_e32 v[92:93], s[0:1], v[100:101]
	v_fmac_f64_e32 v[88:89], s[18:19], v[44:45]
	v_fma_f64 v[84:85], v[44:45], s[24:25], -v[84:85]
	v_fma_f64 v[42:43], v[42:43], s[20:21], -v[90:91]
	v_fmac_f64_e32 v[90:91], s[18:19], v[46:47]
	v_fma_f64 v[44:45], v[46:47], s[24:25], -v[40:41]
	v_add_f64 v[50:51], v[50:51], v[86:87]
	v_add_f64 v[40:41], v[94:95], v[86:87]
	;; [unrolled: 1-line block ×6, first 2 shown]
	v_fmac_f64_e32 v[88:89], s[22:23], v[36:37]
	v_fmac_f64_e32 v[90:91], s[22:23], v[38:39]
	;; [unrolled: 1-line block ×6, first 2 shown]
	v_add_f64 v[36:37], v[40:41], -v[42:43]
	v_add_f64 v[38:39], v[96:97], v[48:49]
	v_add_f64 v[40:41], v[42:43], v[40:41]
	v_add_f64 v[42:43], v[48:49], -v[96:97]
	v_add_f64 v[80:81], v[44:45], v[46:47]
	v_add_f64 v[82:83], v[86:87], -v[84:85]
	v_add_f64 v[44:45], v[46:47], -v[44:45]
	v_add_f64 v[46:47], v[84:85], v[86:87]
	v_add_f64 v[84:85], v[90:91], v[50:51]
	v_add_f64 v[86:87], v[78:79], -v[88:89]
	v_add_f64 v[48:49], v[50:51], -v[90:91]
	v_add_f64 v[50:51], v[88:89], v[78:79]
	v_add_f64 v[78:79], v[52:53], v[72:73]
	;; [unrolled: 1-line block ×8, first 2 shown]
	v_add_f64 v[56:57], v[56:57], -v[68:69]
	v_add_f64 v[60:61], v[64:65], -v[60:61]
	;; [unrolled: 1-line block ×5, first 2 shown]
	v_add_f64 v[92:93], v[90:91], v[92:93]
	v_add_f64 v[100:101], v[96:97], v[94:95]
	v_add_f64 v[52:53], v[52:53], -v[72:73]
	v_add_f64 v[54:55], v[54:55], -v[76:77]
	;; [unrolled: 1-line block ×7, first 2 shown]
	v_add_f64 v[78:79], v[60:61], v[56:57]
	v_mul_f64 v[66:67], v[66:67], s[16:17]
	v_mul_f64 v[94:95], v[68:69], s[8:9]
	v_add_f64 v[100:101], v[98:99], v[100:101]
	v_add_f64 v[0:1], v[0:1], v[92:93]
	v_add_f64 v[88:89], v[60:61], -v[56:57]
	v_add_f64 v[60:61], v[52:53], -v[60:61]
	;; [unrolled: 1-line block ×3, first 2 shown]
	v_add_f64 v[78:79], v[78:79], v[52:53]
	v_add_f64 v[52:53], v[62:63], v[58:59]
	v_fma_f64 v[94:95], v[64:65], s[12:13], -v[94:95]
	v_fma_f64 v[64:65], v[64:65], s[14:15], -v[66:67]
	v_fmac_f64_e32 v[66:67], s[8:9], v[68:69]
	v_mul_f64 v[68:69], v[72:73], s[16:17]
	v_mul_f64 v[72:73], v[76:77], s[8:9]
	v_add_f64 v[2:3], v[2:3], v[100:101]
	v_add_f64 v[90:91], v[62:63], -v[58:59]
	v_add_f64 v[62:63], v[54:55], -v[62:63]
	;; [unrolled: 1-line block ×3, first 2 shown]
	v_add_f64 v[54:55], v[52:53], v[54:55]
	v_mov_b64_e32 v[52:53], v[0:1]
	v_fma_f64 v[72:73], v[70:71], s[12:13], -v[72:73]
	v_fma_f64 v[70:71], v[70:71], s[14:15], -v[68:69]
	v_fmac_f64_e32 v[68:69], s[8:9], v[76:77]
	v_mul_f64 v[96:97], v[88:89], s[26:27]
	v_mul_f64 v[76:77], v[56:57], s[20:21]
	v_fmac_f64_e32 v[52:53], s[0:1], v[92:93]
	v_mov_b64_e32 v[92:93], v[2:3]
	v_fma_f64 v[56:57], v[56:57], s[20:21], -v[96:97]
	v_fmac_f64_e32 v[96:97], s[18:19], v[60:61]
	v_fma_f64 v[76:77], v[60:61], s[24:25], -v[76:77]
	v_mul_f64 v[88:89], v[90:91], s[26:27]
	v_mul_f64 v[60:61], v[58:59], s[20:21]
	v_fmac_f64_e32 v[92:93], s[0:1], v[100:101]
	v_fma_f64 v[90:91], v[58:59], s[20:21], -v[88:89]
	v_fmac_f64_e32 v[88:89], s[18:19], v[62:63]
	v_fma_f64 v[98:99], v[62:63], s[24:25], -v[60:61]
	v_add_f64 v[100:101], v[66:67], v[52:53]
	v_add_f64 v[62:63], v[94:95], v[52:53]
	v_add_f64 v[94:95], v[64:65], v[52:53]
	v_add_f64 v[102:103], v[68:69], v[92:93]
	v_add_f64 v[64:65], v[72:73], v[92:93]
	v_add_f64 v[72:73], v[70:71], v[92:93]
	v_fmac_f64_e32 v[96:97], s[22:23], v[78:79]
	v_fmac_f64_e32 v[88:89], s[22:23], v[54:55]
	;; [unrolled: 1-line block ×6, first 2 shown]
	v_add_f64 v[58:59], v[62:63], -v[90:91]
	v_add_f64 v[60:61], v[56:57], v[64:65]
	v_add_f64 v[62:63], v[90:91], v[62:63]
	v_add_f64 v[64:65], v[64:65], -v[56:57]
	v_add_f64 v[66:67], v[98:99], v[94:95]
	v_add_f64 v[68:69], v[72:73], -v[76:77]
	v_add_f64 v[70:71], v[94:95], -v[98:99]
	v_add_f64 v[72:73], v[76:77], v[72:73]
	v_add_f64 v[76:77], v[88:89], v[100:101]
	v_add_f64 v[78:79], v[102:103], -v[96:97]
	v_add_f64 v[88:89], v[100:101], -v[88:89]
	v_add_f64 v[90:91], v[96:97], v[102:103]
	s_waitcnt lgkmcnt(0)
	; wave barrier
	ds_write_b128 v113, v[4:7]
	ds_write_b128 v113, v[28:31] offset:384
	ds_write_b128 v113, v[24:27] offset:768
	ds_write_b128 v113, v[8:11] offset:1152
	ds_write_b128 v113, v[12:15] offset:1536
	ds_write_b128 v113, v[16:19] offset:1920
	ds_write_b128 v113, v[20:23] offset:2304
	ds_write_b128 v114, v[32:35]
	ds_write_b128 v114, v[84:87] offset:384
	ds_write_b128 v114, v[80:83] offset:768
	ds_write_b128 v114, v[36:39] offset:1152
	ds_write_b128 v114, v[40:43] offset:1536
	ds_write_b128 v114, v[44:47] offset:1920
	ds_write_b128 v114, v[48:51] offset:2304
	;; [unrolled: 7-line block ×3, first 2 shown]
	s_waitcnt lgkmcnt(0)
	; wave barrier
	s_waitcnt lgkmcnt(0)
	ds_read_b128 v[8:11], v74
	ds_read_b128 v[4:7], v74 offset:896
	ds_read_b128 v[12:15], v74 offset:5376
	;; [unrolled: 1-line block ×19, first 2 shown]
	s_waitcnt lgkmcnt(11)
	v_mul_f64 v[92:93], v[186:187], v[38:39]
	v_mul_f64 v[106:107], v[202:203], v[18:19]
	v_fmac_f64_e32 v[92:93], v[184:185], v[36:37]
	v_mul_f64 v[36:37], v[186:187], v[36:37]
	v_mul_f64 v[100:101], v[166:167], v[22:23]
	v_fmac_f64_e32 v[106:107], v[200:201], v[16:17]
	v_mul_f64 v[16:17], v[202:203], v[16:17]
	v_fma_f64 v[94:95], v[184:185], v[38:39], -v[36:37]
	s_waitcnt lgkmcnt(7)
	v_mul_f64 v[36:37], v[170:171], v[48:49]
	v_fmac_f64_e32 v[100:101], v[164:165], v[20:21]
	v_mul_f64 v[20:21], v[166:167], v[20:21]
	v_fma_f64 v[108:109], v[200:201], v[18:19], -v[16:17]
	s_waitcnt lgkmcnt(5)
	v_mul_f64 v[110:111], v[198:199], v[64:65]
	v_mul_f64 v[16:17], v[198:199], v[62:63]
	v_fma_f64 v[98:99], v[168:169], v[50:51], -v[36:37]
	v_fma_f64 v[20:21], v[164:165], v[22:23], -v[20:21]
	s_waitcnt lgkmcnt(3)
	v_mul_f64 v[22:23], v[190:191], v[72:73]
	v_mul_f64 v[36:37], v[190:191], v[70:71]
	v_fmac_f64_e32 v[110:111], v[196:197], v[62:63]
	v_fma_f64 v[62:63], v[196:197], v[64:65], -v[16:17]
	v_mul_f64 v[16:17], v[194:195], v[24:25]
	v_fmac_f64_e32 v[22:23], v[188:189], v[70:71]
	v_fma_f64 v[70:71], v[188:189], v[72:73], -v[36:37]
	v_mul_f64 v[72:73], v[182:183], v[30:31]
	v_fma_f64 v[112:113], v[192:193], v[26:27], -v[16:17]
	s_waitcnt lgkmcnt(1)
	v_mul_f64 v[114:115], v[214:215], v[82:83]
	v_mul_f64 v[16:17], v[214:215], v[80:81]
	v_fmac_f64_e32 v[72:73], v[180:181], v[28:29]
	v_mul_f64 v[28:29], v[182:183], v[28:29]
	v_fmac_f64_e32 v[114:115], v[212:213], v[80:81]
	v_fma_f64 v[80:81], v[212:213], v[82:83], -v[16:17]
	v_mul_f64 v[16:17], v[206:207], v[32:33]
	ds_read_b128 v[88:91], v74 offset:17920
	v_fma_f64 v[28:29], v[180:181], v[30:31], -v[28:29]
	v_mul_f64 v[30:31], v[210:211], v[40:41]
	v_fma_f64 v[116:117], v[204:205], v[34:35], -v[16:17]
	v_mul_f64 v[16:17], v[230:231], v[44:45]
	v_mul_f64 v[102:103], v[210:211], v[42:43]
	v_fma_f64 v[104:105], v[208:209], v[42:43], -v[30:31]
	v_mul_f64 v[36:37], v[230:231], v[46:47]
	v_fma_f64 v[42:43], v[228:229], v[46:47], -v[16:17]
	v_mul_f64 v[16:17], v[226:227], v[58:59]
	v_mul_f64 v[96:97], v[178:179], v[14:15]
	v_fmac_f64_e32 v[36:37], v[228:229], v[44:45]
	v_fma_f64 v[44:45], v[224:225], v[60:61], -v[16:17]
	v_mul_f64 v[16:17], v[222:223], v[66:67]
	v_fmac_f64_e32 v[96:97], v[176:177], v[12:13]
	v_mul_f64 v[12:13], v[178:179], v[12:13]
	v_fma_f64 v[46:47], v[220:221], v[68:69], -v[16:17]
	v_mul_f64 v[16:17], v[218:219], v[76:77]
	v_fma_f64 v[12:13], v[176:177], v[14:15], -v[12:13]
	;; [unrolled: 2-line block ×3, first 2 shown]
	s_waitcnt lgkmcnt(1)
	v_mul_f64 v[118:119], v[238:239], v[86:87]
	v_mul_f64 v[16:17], v[238:239], v[84:85]
	v_fmac_f64_e32 v[118:119], v[236:237], v[84:85]
	v_fma_f64 v[84:85], v[236:237], v[86:87], -v[16:17]
	s_waitcnt lgkmcnt(0)
	v_mul_f64 v[86:87], v[234:235], v[90:91]
	v_mul_f64 v[16:17], v[234:235], v[88:89]
	v_fmac_f64_e32 v[14:15], v[168:169], v[48:49]
	v_mul_f64 v[64:65], v[194:195], v[26:27]
	v_mul_f64 v[82:83], v[206:207], v[34:35]
	;; [unrolled: 1-line block ×3, first 2 shown]
	v_fmac_f64_e32 v[86:87], v[232:233], v[88:89]
	v_fma_f64 v[88:89], v[232:233], v[90:91], -v[16:17]
	v_add_f64 v[16:17], v[92:93], v[72:73]
	v_add_f64 v[18:19], v[94:95], v[28:29]
	v_add_f64 v[26:27], v[94:95], -v[28:29]
	v_add_f64 v[28:29], v[96:97], v[22:23]
	v_fmac_f64_e32 v[102:103], v[208:209], v[40:41]
	v_fmac_f64_e32 v[82:83], v[204:205], v[32:33]
	v_fmac_f64_e32 v[38:39], v[224:225], v[58:59]
	v_mul_f64 v[40:41], v[222:223], v[68:69]
	v_add_f64 v[30:31], v[12:13], v[70:71]
	v_add_f64 v[32:33], v[14:15], v[100:101]
	;; [unrolled: 1-line block ×3, first 2 shown]
	v_fmac_f64_e32 v[40:41], v[220:221], v[66:67]
	v_add_f64 v[34:35], v[98:99], v[20:21]
	v_add_f64 v[60:61], v[30:31], v[18:19]
	v_add_f64 v[66:67], v[28:29], -v[16:17]
	v_add_f64 v[16:17], v[16:17], -v[32:33]
	;; [unrolled: 1-line block ×3, first 2 shown]
	v_add_f64 v[32:33], v[32:33], v[58:59]
	v_mul_f64 v[48:49], v[218:219], v[78:79]
	v_add_f64 v[22:23], v[96:97], -v[22:23]
	v_add_f64 v[12:13], v[12:13], -v[70:71]
	;; [unrolled: 1-line block ×7, first 2 shown]
	v_add_f64 v[34:35], v[34:35], v[60:61]
	v_add_f64 v[8:9], v[8:9], v[32:33]
	v_fmac_f64_e32 v[64:65], v[192:193], v[24:25]
	v_fmac_f64_e32 v[48:49], v[216:217], v[76:77]
	v_add_f64 v[24:25], v[92:93], -v[72:73]
	v_add_f64 v[70:71], v[14:15], v[22:23]
	v_add_f64 v[72:73], v[20:21], v[12:13]
	v_add_f64 v[76:77], v[14:15], -v[22:23]
	v_add_f64 v[78:79], v[20:21], -v[12:13]
	v_add_f64 v[10:11], v[10:11], v[34:35]
	v_mov_b64_e32 v[90:91], v[8:9]
	v_add_f64 v[14:15], v[24:25], -v[14:15]
	v_add_f64 v[20:21], v[26:27], -v[20:21]
	;; [unrolled: 1-line block ×4, first 2 shown]
	v_add_f64 v[24:25], v[70:71], v[24:25]
	v_add_f64 v[26:27], v[72:73], v[26:27]
	v_mul_f64 v[16:17], v[16:17], s[16:17]
	v_mul_f64 v[18:19], v[18:19], s[16:17]
	v_mul_f64 v[58:59], v[28:29], s[8:9]
	v_mul_f64 v[60:61], v[30:31], s[8:9]
	v_mul_f64 v[70:71], v[76:77], s[26:27]
	v_mul_f64 v[72:73], v[78:79], s[26:27]
	v_fmac_f64_e32 v[90:91], s[0:1], v[32:33]
	v_mov_b64_e32 v[32:33], v[10:11]
	v_mul_f64 v[76:77], v[22:23], s[20:21]
	v_mul_f64 v[78:79], v[12:13], s[20:21]
	v_fmac_f64_e32 v[32:33], s[0:1], v[34:35]
	v_fma_f64 v[34:35], v[66:67], s[12:13], -v[58:59]
	v_fma_f64 v[58:59], v[68:69], s[12:13], -v[60:61]
	;; [unrolled: 1-line block ×3, first 2 shown]
	v_fmac_f64_e32 v[16:17], s[8:9], v[28:29]
	v_fma_f64 v[28:29], v[68:69], s[14:15], -v[18:19]
	v_fmac_f64_e32 v[18:19], s[8:9], v[30:31]
	v_fma_f64 v[30:31], v[22:23], s[20:21], -v[70:71]
	v_fmac_f64_e32 v[70:71], s[18:19], v[14:15]
	v_fma_f64 v[66:67], v[12:13], s[20:21], -v[72:73]
	v_fmac_f64_e32 v[72:73], s[18:19], v[20:21]
	v_fma_f64 v[68:69], v[14:15], s[24:25], -v[76:77]
	v_fma_f64 v[76:77], v[20:21], s[24:25], -v[78:79]
	v_add_f64 v[92:93], v[18:19], v[32:33]
	v_add_f64 v[34:35], v[34:35], v[90:91]
	;; [unrolled: 1-line block ×3, first 2 shown]
	v_fmac_f64_e32 v[70:71], s[22:23], v[24:25]
	v_fmac_f64_e32 v[30:31], s[22:23], v[24:25]
	;; [unrolled: 1-line block ×3, first 2 shown]
	v_add_f64 v[78:79], v[16:17], v[90:91]
	v_add_f64 v[60:61], v[60:61], v[90:91]
	;; [unrolled: 1-line block ×3, first 2 shown]
	v_fmac_f64_e32 v[72:73], s[22:23], v[26:27]
	v_fmac_f64_e32 v[68:69], s[22:23], v[24:25]
	;; [unrolled: 1-line block ×3, first 2 shown]
	v_add_f64 v[14:15], v[92:93], -v[70:71]
	v_add_f64 v[20:21], v[34:35], -v[66:67]
	v_add_f64 v[22:23], v[30:31], v[58:59]
	v_add_f64 v[24:25], v[66:67], v[34:35]
	v_add_f64 v[26:27], v[58:59], -v[30:31]
	v_add_f64 v[34:35], v[70:71], v[92:93]
	v_add_f64 v[58:59], v[102:103], v[82:83]
	;; [unrolled: 1-line block ×5, first 2 shown]
	v_add_f64 v[18:19], v[32:33], -v[68:69]
	v_add_f64 v[28:29], v[60:61], -v[76:77]
	v_add_f64 v[30:31], v[68:69], v[32:33]
	v_add_f64 v[32:33], v[78:79], -v[72:73]
	v_add_f64 v[60:61], v[104:105], v[116:117]
	v_add_f64 v[72:73], v[108:109], v[80:81]
	v_add_f64 v[78:79], v[108:109], -v[80:81]
	v_add_f64 v[80:81], v[110:111], v[64:65]
	v_add_f64 v[90:91], v[70:71], v[58:59]
	v_add_f64 v[66:67], v[102:103], -v[82:83]
	v_add_f64 v[82:83], v[62:63], v[112:113]
	v_add_f64 v[92:93], v[72:73], v[60:61]
	v_add_f64 v[94:95], v[70:71], -v[58:59]
	v_add_f64 v[58:59], v[58:59], -v[80:81]
	;; [unrolled: 1-line block ×3, first 2 shown]
	v_add_f64 v[80:81], v[80:81], v[90:91]
	v_add_f64 v[76:77], v[106:107], -v[114:115]
	v_add_f64 v[64:65], v[64:65], -v[110:111]
	v_add_f64 v[96:97], v[72:73], -v[60:61]
	v_add_f64 v[60:61], v[60:61], -v[82:83]
	v_add_f64 v[72:73], v[82:83], -v[72:73]
	v_add_f64 v[82:83], v[82:83], v[92:93]
	v_add_f64 v[4:5], v[4:5], v[80:81]
	v_add_f64 v[68:69], v[104:105], -v[116:117]
	v_add_f64 v[62:63], v[112:113], -v[62:63]
	v_add_f64 v[98:99], v[64:65], v[76:77]
	v_add_f64 v[102:103], v[64:65], -v[76:77]
	v_add_f64 v[6:7], v[6:7], v[82:83]
	v_mov_b64_e32 v[106:107], v[4:5]
	v_add_f64 v[100:101], v[62:63], v[78:79]
	v_add_f64 v[104:105], v[62:63], -v[78:79]
	v_add_f64 v[64:65], v[66:67], -v[64:65]
	;; [unrolled: 1-line block ×4, first 2 shown]
	v_add_f64 v[66:67], v[98:99], v[66:67]
	v_mul_f64 v[58:59], v[58:59], s[16:17]
	v_mul_f64 v[60:61], v[60:61], s[16:17]
	;; [unrolled: 1-line block ×5, first 2 shown]
	v_fmac_f64_e32 v[106:107], s[0:1], v[80:81]
	v_mov_b64_e32 v[80:81], v[6:7]
	v_add_f64 v[62:63], v[68:69], -v[62:63]
	v_add_f64 v[68:69], v[100:101], v[68:69]
	v_mul_f64 v[100:101], v[104:105], s[26:27]
	v_mul_f64 v[104:105], v[78:79], s[20:21]
	v_fmac_f64_e32 v[80:81], s[0:1], v[82:83]
	v_fma_f64 v[82:83], v[94:95], s[12:13], -v[90:91]
	v_fma_f64 v[90:91], v[96:97], s[12:13], -v[92:93]
	;; [unrolled: 1-line block ×3, first 2 shown]
	v_fmac_f64_e32 v[58:59], s[8:9], v[70:71]
	v_fma_f64 v[70:71], v[96:97], s[14:15], -v[60:61]
	v_fmac_f64_e32 v[60:61], s[8:9], v[72:73]
	v_fma_f64 v[72:73], v[76:77], s[20:21], -v[98:99]
	v_mul_f64 v[102:103], v[76:77], s[20:21]
	v_fma_f64 v[76:77], v[78:79], s[20:21], -v[100:101]
	v_fmac_f64_e32 v[100:101], s[18:19], v[62:63]
	v_fma_f64 v[94:95], v[62:63], s[24:25], -v[104:105]
	v_add_f64 v[90:91], v[90:91], v[80:81]
	v_fmac_f64_e32 v[72:73], s[22:23], v[66:67]
	v_fmac_f64_e32 v[98:99], s[18:19], v[64:65]
	v_fma_f64 v[78:79], v[64:65], s[24:25], -v[102:103]
	v_add_f64 v[82:83], v[82:83], v[106:107]
	v_add_f64 v[92:93], v[92:93], v[106:107]
	v_fmac_f64_e32 v[100:101], s[22:23], v[68:69]
	v_fmac_f64_e32 v[76:77], s[22:23], v[68:69]
	;; [unrolled: 1-line block ×3, first 2 shown]
	v_add_f64 v[68:69], v[72:73], v[90:91]
	v_add_f64 v[72:73], v[90:91], -v[72:73]
	v_add_f64 v[90:91], v[36:37], v[86:87]
	v_add_f64 v[36:37], v[36:37], -v[86:87]
	v_add_f64 v[86:87], v[38:39], v[118:119]
	v_add_f64 v[102:103], v[60:61], v[80:81]
	;; [unrolled: 1-line block ×3, first 2 shown]
	v_fmac_f64_e32 v[98:99], s[22:23], v[66:67]
	v_fmac_f64_e32 v[78:79], s[22:23], v[66:67]
	v_add_f64 v[62:63], v[94:95], v[92:93]
	v_add_f64 v[66:67], v[82:83], -v[76:77]
	v_add_f64 v[70:71], v[76:77], v[82:83]
	v_add_f64 v[76:77], v[92:93], -v[94:95]
	;; [unrolled: 2-line block ×5, first 2 shown]
	v_add_f64 v[48:49], v[86:87], v[90:91]
	v_add_f64 v[94:95], v[46:47], v[50:51]
	v_add_f64 v[46:47], v[50:51], -v[46:47]
	v_add_f64 v[50:51], v[88:89], v[92:93]
	v_add_f64 v[48:49], v[84:85], v[48:49]
	;; [unrolled: 1-line block ×3, first 2 shown]
	v_add_f64 v[38:39], v[38:39], -v[118:119]
	v_add_f64 v[50:51], v[94:95], v[50:51]
	v_add_f64 v[0:1], v[0:1], v[48:49]
	;; [unrolled: 1-line block ×3, first 2 shown]
	v_add_f64 v[60:61], v[102:103], -v[98:99]
	v_add_f64 v[64:65], v[80:81], -v[78:79]
	v_add_f64 v[78:79], v[78:79], v[80:81]
	v_add_f64 v[80:81], v[96:97], -v[100:101]
	v_add_f64 v[82:83], v[98:99], v[102:103]
	v_add_f64 v[96:97], v[86:87], -v[90:91]
	v_add_f64 v[98:99], v[88:89], -v[92:93]
	v_add_f64 v[90:91], v[90:91], -v[84:85]
	v_add_f64 v[92:93], v[92:93], -v[94:95]
	v_add_f64 v[86:87], v[84:85], -v[86:87]
	v_add_f64 v[88:89], v[94:95], -v[88:89]
	v_add_f64 v[100:101], v[40:41], v[38:39]
	v_add_f64 v[102:103], v[46:47], v[44:45]
	v_add_f64 v[104:105], v[40:41], -v[38:39]
	v_add_f64 v[106:107], v[46:47], -v[44:45]
	;; [unrolled: 1-line block ×4, first 2 shown]
	v_add_f64 v[2:3], v[2:3], v[50:51]
	v_mov_b64_e32 v[108:109], v[0:1]
	v_add_f64 v[40:41], v[36:37], -v[40:41]
	v_add_f64 v[46:47], v[42:43], -v[46:47]
	v_add_f64 v[36:37], v[100:101], v[36:37]
	v_add_f64 v[42:43], v[102:103], v[42:43]
	v_mul_f64 v[84:85], v[90:91], s[16:17]
	v_mul_f64 v[90:91], v[92:93], s[16:17]
	;; [unrolled: 1-line block ×8, first 2 shown]
	v_fmac_f64_e32 v[108:109], s[0:1], v[48:49]
	v_mov_b64_e32 v[48:49], v[2:3]
	v_fmac_f64_e32 v[48:49], s[0:1], v[50:51]
	v_fma_f64 v[50:51], s[8:9], v[86:87], v[84:85]
	v_fma_f64 v[86:87], v[96:97], s[12:13], -v[92:93]
	v_fma_f64 v[92:93], v[98:99], s[12:13], -v[94:95]
	;; [unrolled: 1-line block ×4, first 2 shown]
	v_fmac_f64_e32 v[90:91], s[8:9], v[88:89]
	v_fma_f64 v[96:97], s[18:19], v[40:41], v[100:101]
	v_fma_f64 v[88:89], v[38:39], s[20:21], -v[100:101]
	v_fma_f64 v[98:99], v[44:45], s[20:21], -v[102:103]
	v_fmac_f64_e32 v[102:103], s[18:19], v[46:47]
	v_fma_f64 v[100:101], v[40:41], s[24:25], -v[104:105]
	v_fma_f64 v[104:105], v[46:47], s[24:25], -v[106:107]
	v_add_f64 v[106:107], v[50:51], v[108:109]
	v_add_f64 v[90:91], v[90:91], v[48:49]
	;; [unrolled: 1-line block ×6, first 2 shown]
	v_fmac_f64_e32 v[96:97], s[22:23], v[36:37]
	v_fmac_f64_e32 v[102:103], s[22:23], v[42:43]
	;; [unrolled: 1-line block ×6, first 2 shown]
	v_add_f64 v[36:37], v[102:103], v[106:107]
	v_add_f64 v[38:39], v[90:91], -v[96:97]
	v_add_f64 v[40:41], v[104:105], v[84:85]
	v_add_f64 v[42:43], v[92:93], -v[100:101]
	v_add_f64 v[44:45], v[50:51], -v[98:99]
	v_add_f64 v[46:47], v[88:89], v[86:87]
	v_add_f64 v[48:49], v[98:99], v[50:51]
	v_add_f64 v[50:51], v[86:87], -v[88:89]
	v_add_f64 v[84:85], v[84:85], -v[104:105]
	v_add_f64 v[86:87], v[100:101], v[92:93]
	v_add_f64 v[88:89], v[106:107], -v[102:103]
	v_add_f64 v[90:91], v[96:97], v[90:91]
	ds_write_b128 v74, v[8:11]
	ds_write_b128 v74, v[12:15] offset:2688
	ds_write_b128 v74, v[16:19] offset:5376
	;; [unrolled: 1-line block ×20, first 2 shown]
	s_waitcnt lgkmcnt(0)
	; wave barrier
	s_waitcnt lgkmcnt(0)
	ds_read_b128 v[0:3], v74
	v_accvgpr_read_b32 v120, a8
	v_mov_b32_e32 v52, s10
	v_mov_b32_e32 v53, s11
	v_mad_u64_u32 v[54:55], s[10:11], s6, v120, 0
	v_mov_b32_e32 v56, v55
	v_accvgpr_read_b32 v10, a34
	v_mad_u64_u32 v[4:5], s[0:1], s7, v120, v[56:57]
	v_accvgpr_read_b32 v12, a36
	v_accvgpr_read_b32 v13, a37
	v_mov_b32_e32 v55, v4
	ds_read_b128 v[4:7], v74 offset:896
	v_accvgpr_read_b32 v11, a35
	s_waitcnt lgkmcnt(1)
	v_mul_f64 v[8:9], v[12:13], v[2:3]
	v_fmac_f64_e32 v[8:9], v[10:11], v[0:1]
	s_mov_b32 s0, 0x899406f7
	v_mul_f64 v[0:1], v[12:13], v[0:1]
	v_accvgpr_read_b32 v12, a2
	s_mov_b32 s1, 0x3f4bdd2b
	v_fma_f64 v[0:1], v[10:11], v[2:3], -v[0:1]
	v_mad_u64_u32 v[2:3], s[6:7], s4, v12, 0
	v_mul_f64 v[10:11], v[0:1], s[0:1]
	v_mov_b32_e32 v0, v3
	v_mad_u64_u32 v[0:1], s[6:7], s5, v12, v[0:1]
	ds_read_b128 v[12:15], v74 offset:9408
	v_mov_b32_e32 v3, v0
	v_lshl_add_u64 v[0:1], v[54:55], 4, v[52:53]
	v_accvgpr_read_b32 v21, a7
	v_mul_f64 v[8:9], v[8:9], s[0:1]
	v_lshl_add_u64 v[2:3], v[2:3], 4, v[0:1]
	v_accvgpr_read_b32 v20, a6
	global_store_dwordx4 v[2:3], v[8:11], off
	ds_read_b128 v[8:11], v74 offset:10304
	v_accvgpr_read_b32 v19, a5
	v_accvgpr_read_b32 v18, a4
	s_waitcnt lgkmcnt(1)
	v_mul_f64 v[16:17], v[20:21], v[14:15]
	s_mul_i32 s6, s5, 0x24c
	s_mul_hi_u32 s7, s4, 0x24c
	v_fmac_f64_e32 v[16:17], v[18:19], v[12:13]
	v_mul_f64 v[12:13], v[20:21], v[12:13]
	s_add_i32 s7, s7, s6
	s_mul_i32 s6, s4, 0x24c
	v_fma_f64 v[12:13], v[18:19], v[14:15], -v[12:13]
	s_lshl_b64 s[10:11], s[6:7], 4
	v_mul_f64 v[16:17], v[16:17], s[0:1]
	v_mul_f64 v[18:19], v[12:13], s[0:1]
	v_lshl_add_u64 v[12:13], v[2:3], 0, s[10:11]
	global_store_dwordx4 v[12:13], v[16:19], off
	s_mul_hi_u32 s9, s4, 0xfffffdec
	s_mul_i32 s8, s5, 0xfffffdec
	v_accvgpr_read_b32 v17, a13
	v_accvgpr_read_b32 v16, a12
	;; [unrolled: 1-line block ×4, first 2 shown]
	v_mul_f64 v[2:3], v[16:17], v[6:7]
	s_sub_i32 s9, s9, s4
	v_fmac_f64_e32 v[2:3], v[14:15], v[4:5]
	v_mul_f64 v[4:5], v[16:17], v[4:5]
	s_add_i32 s9, s9, s8
	s_mul_i32 s8, s4, 0xfffffdec
	v_fma_f64 v[4:5], v[14:15], v[6:7], -v[4:5]
	s_lshl_b64 s[12:13], s[8:9], 4
	v_accvgpr_read_b32 v14, a82
	v_mul_f64 v[2:3], v[2:3], s[0:1]
	v_mul_f64 v[4:5], v[4:5], s[0:1]
	v_lshl_add_u64 v[12:13], v[12:13], 0, s[12:13]
	v_accvgpr_read_b32 v16, a84
	v_accvgpr_read_b32 v17, a85
	global_store_dwordx4 v[12:13], v[2:5], off
	v_accvgpr_read_b32 v15, a83
	v_accvgpr_read_b32 v20, a74
	s_waitcnt lgkmcnt(0)
	v_mul_f64 v[2:3], v[16:17], v[10:11]
	v_fmac_f64_e32 v[2:3], v[14:15], v[8:9]
	v_mul_f64 v[4:5], v[16:17], v[8:9]
	ds_read_b128 v[6:9], v74 offset:1792
	v_fma_f64 v[4:5], v[14:15], v[10:11], -v[4:5]
	v_accvgpr_read_b32 v16, a78
	v_mul_f64 v[2:3], v[2:3], s[0:1]
	v_mul_f64 v[4:5], v[4:5], s[0:1]
	v_lshl_add_u64 v[14:15], v[12:13], 0, s[10:11]
	v_accvgpr_read_b32 v18, a80
	v_accvgpr_read_b32 v19, a81
	global_store_dwordx4 v[14:15], v[2:5], off
	ds_read_b128 v[2:5], v74 offset:2688
	v_accvgpr_read_b32 v17, a79
	s_waitcnt lgkmcnt(1)
	v_mul_f64 v[10:11], v[18:19], v[8:9]
	v_fmac_f64_e32 v[10:11], v[16:17], v[6:7]
	v_mul_f64 v[6:7], v[18:19], v[6:7]
	v_fma_f64 v[12:13], v[16:17], v[8:9], -v[6:7]
	ds_read_b128 v[6:9], v74 offset:11200
	v_mul_f64 v[10:11], v[10:11], s[0:1]
	v_mul_f64 v[12:13], v[12:13], s[0:1]
	v_lshl_add_u64 v[18:19], v[14:15], 0, s[12:13]
	v_accvgpr_read_b32 v22, a76
	v_accvgpr_read_b32 v23, a77
	global_store_dwordx4 v[18:19], v[10:13], off
	ds_read_b128 v[10:13], v74 offset:12096
	v_accvgpr_read_b32 v21, a75
	s_waitcnt lgkmcnt(1)
	v_mul_f64 v[14:15], v[22:23], v[8:9]
	v_fmac_f64_e32 v[14:15], v[20:21], v[6:7]
	v_mul_f64 v[6:7], v[22:23], v[6:7]
	v_fma_f64 v[6:7], v[20:21], v[8:9], -v[6:7]
	v_mul_f64 v[14:15], v[14:15], s[0:1]
	v_mul_f64 v[16:17], v[6:7], s[0:1]
	v_lshl_add_u64 v[18:19], v[18:19], 0, s[10:11]
	global_store_dwordx4 v[18:19], v[14:17], off
	v_accvgpr_read_b32 v20, a22
	v_accvgpr_read_b32 v22, a24
	v_accvgpr_read_b32 v14, a70
	v_accvgpr_read_b32 v16, a72
	v_accvgpr_read_b32 v17, a73
	v_accvgpr_read_b32 v15, a71
	v_mul_f64 v[6:7], v[16:17], v[4:5]
	v_fmac_f64_e32 v[6:7], v[14:15], v[2:3]
	v_mul_f64 v[2:3], v[16:17], v[2:3]
	v_fma_f64 v[2:3], v[14:15], v[4:5], -v[2:3]
	v_mul_f64 v[6:7], v[6:7], s[0:1]
	v_mul_f64 v[8:9], v[2:3], s[0:1]
	v_lshl_add_u64 v[14:15], v[18:19], 0, s[12:13]
	global_store_dwordx4 v[14:15], v[6:9], off
	v_accvgpr_read_b32 v16, a46
	v_lshl_add_u64 v[14:15], v[14:15], 0, s[10:11]
	v_accvgpr_read_b32 v6, a66
	v_accvgpr_read_b32 v8, a68
	;; [unrolled: 1-line block ×4, first 2 shown]
	s_waitcnt lgkmcnt(0)
	v_mul_f64 v[2:3], v[8:9], v[12:13]
	v_mul_f64 v[4:5], v[8:9], v[10:11]
	v_fmac_f64_e32 v[2:3], v[6:7], v[10:11]
	v_fma_f64 v[4:5], v[6:7], v[12:13], -v[4:5]
	ds_read_b128 v[6:9], v74 offset:3584
	v_mul_f64 v[2:3], v[2:3], s[0:1]
	v_mul_f64 v[4:5], v[4:5], s[0:1]
	v_accvgpr_read_b32 v18, a48
	v_accvgpr_read_b32 v19, a49
	global_store_dwordx4 v[14:15], v[2:5], off
	ds_read_b128 v[2:5], v74 offset:4480
	v_accvgpr_read_b32 v17, a47
	s_waitcnt lgkmcnt(1)
	v_mul_f64 v[10:11], v[18:19], v[8:9]
	v_fmac_f64_e32 v[10:11], v[16:17], v[6:7]
	v_mul_f64 v[6:7], v[18:19], v[6:7]
	v_fma_f64 v[12:13], v[16:17], v[8:9], -v[6:7]
	ds_read_b128 v[6:9], v74 offset:12992
	v_mul_f64 v[10:11], v[10:11], s[0:1]
	v_mul_f64 v[12:13], v[12:13], s[0:1]
	v_lshl_add_u64 v[18:19], v[14:15], 0, s[12:13]
	v_accvgpr_read_b32 v23, a25
	global_store_dwordx4 v[18:19], v[10:13], off
	ds_read_b128 v[10:13], v74 offset:13888
	v_accvgpr_read_b32 v21, a23
	s_waitcnt lgkmcnt(1)
	v_mul_f64 v[14:15], v[22:23], v[8:9]
	v_fmac_f64_e32 v[14:15], v[20:21], v[6:7]
	v_mul_f64 v[6:7], v[22:23], v[6:7]
	v_fma_f64 v[6:7], v[20:21], v[8:9], -v[6:7]
	v_mul_f64 v[14:15], v[14:15], s[0:1]
	v_mul_f64 v[16:17], v[6:7], s[0:1]
	v_lshl_add_u64 v[18:19], v[18:19], 0, s[10:11]
	global_store_dwordx4 v[18:19], v[14:17], off
	v_accvgpr_read_b32 v20, a62
	v_accvgpr_read_b32 v22, a64
	;; [unrolled: 1-line block ×6, first 2 shown]
	v_mul_f64 v[6:7], v[16:17], v[4:5]
	v_fmac_f64_e32 v[6:7], v[14:15], v[2:3]
	v_mul_f64 v[2:3], v[16:17], v[2:3]
	v_fma_f64 v[2:3], v[14:15], v[4:5], -v[2:3]
	v_mul_f64 v[6:7], v[6:7], s[0:1]
	v_mul_f64 v[8:9], v[2:3], s[0:1]
	v_lshl_add_u64 v[14:15], v[18:19], 0, s[12:13]
	global_store_dwordx4 v[14:15], v[6:9], off
	v_accvgpr_read_b32 v16, a26
	v_lshl_add_u64 v[14:15], v[14:15], 0, s[10:11]
	v_accvgpr_read_b32 v6, a30
	v_accvgpr_read_b32 v8, a32
	;; [unrolled: 1-line block ×4, first 2 shown]
	s_waitcnt lgkmcnt(0)
	v_mul_f64 v[2:3], v[8:9], v[12:13]
	v_mul_f64 v[4:5], v[8:9], v[10:11]
	v_fmac_f64_e32 v[2:3], v[6:7], v[10:11]
	v_fma_f64 v[4:5], v[6:7], v[12:13], -v[4:5]
	ds_read_b128 v[6:9], v74 offset:5376
	v_mul_f64 v[2:3], v[2:3], s[0:1]
	v_mul_f64 v[4:5], v[4:5], s[0:1]
	v_accvgpr_read_b32 v18, a28
	v_accvgpr_read_b32 v19, a29
	global_store_dwordx4 v[14:15], v[2:5], off
	ds_read_b128 v[2:5], v74 offset:6272
	v_accvgpr_read_b32 v17, a27
	s_waitcnt lgkmcnt(1)
	v_mul_f64 v[10:11], v[18:19], v[8:9]
	v_fmac_f64_e32 v[10:11], v[16:17], v[6:7]
	v_mul_f64 v[6:7], v[18:19], v[6:7]
	v_fma_f64 v[12:13], v[16:17], v[8:9], -v[6:7]
	ds_read_b128 v[6:9], v74 offset:14784
	v_mul_f64 v[10:11], v[10:11], s[0:1]
	v_mul_f64 v[12:13], v[12:13], s[0:1]
	v_lshl_add_u64 v[18:19], v[14:15], 0, s[12:13]
	v_accvgpr_read_b32 v23, a65
	global_store_dwordx4 v[18:19], v[10:13], off
	ds_read_b128 v[10:13], v74 offset:15680
	v_accvgpr_read_b32 v21, a63
	s_waitcnt lgkmcnt(1)
	v_mul_f64 v[14:15], v[22:23], v[8:9]
	v_fmac_f64_e32 v[14:15], v[20:21], v[6:7]
	v_mul_f64 v[6:7], v[22:23], v[6:7]
	v_fma_f64 v[6:7], v[20:21], v[8:9], -v[6:7]
	v_mul_f64 v[14:15], v[14:15], s[0:1]
	v_mul_f64 v[16:17], v[6:7], s[0:1]
	v_lshl_add_u64 v[18:19], v[18:19], 0, s[10:11]
	global_store_dwordx4 v[18:19], v[14:17], off
	v_accvgpr_read_b32 v23, a21
	v_accvgpr_read_b32 v22, a20
	;; [unrolled: 1-line block ×6, first 2 shown]
	v_mul_f64 v[6:7], v[16:17], v[4:5]
	v_fmac_f64_e32 v[6:7], v[14:15], v[2:3]
	v_mul_f64 v[2:3], v[16:17], v[2:3]
	v_fma_f64 v[2:3], v[14:15], v[4:5], -v[2:3]
	v_mul_f64 v[6:7], v[6:7], s[0:1]
	v_mul_f64 v[8:9], v[2:3], s[0:1]
	v_lshl_add_u64 v[14:15], v[18:19], 0, s[12:13]
	global_store_dwordx4 v[14:15], v[6:9], off
	v_lshl_add_u64 v[18:19], v[14:15], 0, s[10:11]
	v_accvgpr_read_b32 v21, a19
	v_accvgpr_read_b32 v6, a54
	;; [unrolled: 1-line block ×5, first 2 shown]
	s_waitcnt lgkmcnt(0)
	v_mul_f64 v[2:3], v[8:9], v[12:13]
	v_mul_f64 v[4:5], v[8:9], v[10:11]
	v_fmac_f64_e32 v[2:3], v[6:7], v[10:11]
	v_fma_f64 v[4:5], v[6:7], v[12:13], -v[4:5]
	ds_read_b128 v[6:9], v74 offset:7168
	v_accvgpr_read_b32 v12, a14
	v_mul_f64 v[2:3], v[2:3], s[0:1]
	v_mul_f64 v[4:5], v[4:5], s[0:1]
	v_accvgpr_read_b32 v14, a16
	v_accvgpr_read_b32 v15, a17
	global_store_dwordx4 v[18:19], v[2:5], off
	ds_read_b128 v[2:5], v74 offset:8064
	v_accvgpr_read_b32 v13, a15
	s_waitcnt lgkmcnt(1)
	v_mul_f64 v[10:11], v[14:15], v[8:9]
	v_fmac_f64_e32 v[10:11], v[12:13], v[6:7]
	v_mul_f64 v[6:7], v[14:15], v[6:7]
	v_fma_f64 v[6:7], v[12:13], v[8:9], -v[6:7]
	v_mul_f64 v[12:13], v[6:7], s[0:1]
	v_accvgpr_read_b32 v7, a3
	v_mad_u64_u32 v[14:15], s[14:15], s4, v7, 0
	v_mov_b32_e32 v6, v15
	v_mad_u64_u32 v[16:17], s[14:15], s5, v7, v[6:7]
	ds_read_b128 v[6:9], v74 offset:16576
	v_mov_b32_e32 v15, v16
	v_mul_f64 v[10:11], v[10:11], s[0:1]
	v_lshl_add_u64 v[0:1], v[14:15], 4, v[0:1]
	global_store_dwordx4 v[0:1], v[10:13], off
	ds_read_b128 v[10:13], v74 offset:17472
	v_accvgpr_read_b32 v20, a18
	s_waitcnt lgkmcnt(1)
	v_mul_f64 v[0:1], v[22:23], v[8:9]
	v_fmac_f64_e32 v[0:1], v[20:21], v[6:7]
	v_mul_f64 v[14:15], v[0:1], s[0:1]
	v_mul_f64 v[0:1], v[22:23], v[6:7]
	v_fma_f64 v[0:1], v[20:21], v[8:9], -v[0:1]
	v_mul_f64 v[16:17], v[0:1], s[0:1]
	v_mov_b32_e32 v0, 0x380
	v_mad_u64_u32 v[6:7], s[14:15], s4, v0, v[18:19]
	s_mul_i32 s4, s5, 0x380
	v_add_u32_e32 v7, s4, v7
	global_store_dwordx4 v[6:7], v[14:17], off
	v_lshl_add_u64 v[6:7], v[6:7], 0, s[12:13]
	s_nop 0
	v_accvgpr_read_b32 v14, a38
	v_accvgpr_read_b32 v16, a40
	;; [unrolled: 1-line block ×4, first 2 shown]
	v_mul_f64 v[0:1], v[16:17], v[4:5]
	v_fmac_f64_e32 v[0:1], v[14:15], v[2:3]
	v_mul_f64 v[2:3], v[16:17], v[2:3]
	v_fma_f64 v[2:3], v[14:15], v[4:5], -v[2:3]
	v_accvgpr_read_b32 v14, a50
	v_mul_f64 v[0:1], v[0:1], s[0:1]
	v_mul_f64 v[2:3], v[2:3], s[0:1]
	v_accvgpr_read_b32 v16, a52
	v_accvgpr_read_b32 v17, a53
	global_store_dwordx4 v[6:7], v[0:3], off
	v_accvgpr_read_b32 v15, a51
	s_waitcnt lgkmcnt(0)
	v_mul_f64 v[0:1], v[16:17], v[12:13]
	v_fmac_f64_e32 v[0:1], v[14:15], v[10:11]
	v_mul_f64 v[2:3], v[0:1], s[0:1]
	v_mul_f64 v[0:1], v[16:17], v[10:11]
	v_fma_f64 v[0:1], v[14:15], v[12:13], -v[0:1]
	v_mul_f64 v[4:5], v[0:1], s[0:1]
	v_lshl_add_u64 v[0:1], v[6:7], 0, s[10:11]
	global_store_dwordx4 v[0:1], v[2:5], off
	s_and_b64 exec, exec, s[2:3]
	s_cbranch_execz .LBB0_31
; %bb.30:
	v_accvgpr_read_b32 v17, a1
	v_accvgpr_read_b32 v16, a0
	v_add_co_u32_e32 v2, vcc, 0x2000, v16
	v_lshl_add_u64 v[14:15], s[8:9], 4, v[0:1]
	s_nop 0
	v_addc_co_u32_e32 v3, vcc, 0, v17, vcc
	global_load_dwordx4 v[2:5], v[2:3], off offset:768
	ds_read_b128 v[6:9], v74 offset:8960
	ds_read_b128 v[10:13], v74 offset:18368
	s_movk_i32 s2, 0x4000
	v_add_co_u32_e32 v16, vcc, s2, v16
	s_waitcnt vmcnt(0) lgkmcnt(1)
	v_mul_f64 v[0:1], v[8:9], v[4:5]
	v_mul_f64 v[4:5], v[6:7], v[4:5]
	v_fmac_f64_e32 v[0:1], v[6:7], v[2:3]
	v_fma_f64 v[2:3], v[2:3], v[8:9], -v[4:5]
	v_mul_f64 v[0:1], v[0:1], s[0:1]
	v_mul_f64 v[2:3], v[2:3], s[0:1]
	v_addc_co_u32_e32 v17, vcc, 0, v17, vcc
	global_store_dwordx4 v[14:15], v[0:3], off
	global_load_dwordx4 v[0:3], v[16:17], off offset:1984
	s_waitcnt vmcnt(0) lgkmcnt(0)
	v_mul_f64 v[4:5], v[12:13], v[2:3]
	v_mul_f64 v[2:3], v[10:11], v[2:3]
	v_fmac_f64_e32 v[4:5], v[10:11], v[0:1]
	v_fma_f64 v[2:3], v[0:1], v[12:13], -v[2:3]
	v_mul_f64 v[0:1], v[4:5], s[0:1]
	v_mul_f64 v[2:3], v[2:3], s[0:1]
	v_lshl_add_u64 v[4:5], s[6:7], 4, v[14:15]
	global_store_dwordx4 v[4:5], v[0:3], off
.LBB0_31:
	s_endpgm
	.section	.rodata,"a",@progbits
	.p2align	6, 0x0
	.amdhsa_kernel bluestein_single_back_len1176_dim1_dp_op_CI_CI
		.amdhsa_group_segment_fixed_size 18816
		.amdhsa_private_segment_fixed_size 0
		.amdhsa_kernarg_size 104
		.amdhsa_user_sgpr_count 2
		.amdhsa_user_sgpr_dispatch_ptr 0
		.amdhsa_user_sgpr_queue_ptr 0
		.amdhsa_user_sgpr_kernarg_segment_ptr 1
		.amdhsa_user_sgpr_dispatch_id 0
		.amdhsa_user_sgpr_kernarg_preload_length 0
		.amdhsa_user_sgpr_kernarg_preload_offset 0
		.amdhsa_user_sgpr_private_segment_size 0
		.amdhsa_uses_dynamic_stack 0
		.amdhsa_enable_private_segment 0
		.amdhsa_system_sgpr_workgroup_id_x 1
		.amdhsa_system_sgpr_workgroup_id_y 0
		.amdhsa_system_sgpr_workgroup_id_z 0
		.amdhsa_system_sgpr_workgroup_info 0
		.amdhsa_system_vgpr_workitem_id 0
		.amdhsa_next_free_vgpr 410
		.amdhsa_next_free_sgpr 32
		.amdhsa_accum_offset 256
		.amdhsa_reserve_vcc 1
		.amdhsa_float_round_mode_32 0
		.amdhsa_float_round_mode_16_64 0
		.amdhsa_float_denorm_mode_32 3
		.amdhsa_float_denorm_mode_16_64 3
		.amdhsa_dx10_clamp 1
		.amdhsa_ieee_mode 1
		.amdhsa_fp16_overflow 0
		.amdhsa_tg_split 0
		.amdhsa_exception_fp_ieee_invalid_op 0
		.amdhsa_exception_fp_denorm_src 0
		.amdhsa_exception_fp_ieee_div_zero 0
		.amdhsa_exception_fp_ieee_overflow 0
		.amdhsa_exception_fp_ieee_underflow 0
		.amdhsa_exception_fp_ieee_inexact 0
		.amdhsa_exception_int_div_zero 0
	.end_amdhsa_kernel
	.text
.Lfunc_end0:
	.size	bluestein_single_back_len1176_dim1_dp_op_CI_CI, .Lfunc_end0-bluestein_single_back_len1176_dim1_dp_op_CI_CI
                                        ; -- End function
	.section	.AMDGPU.csdata,"",@progbits
; Kernel info:
; codeLenInByte = 28628
; NumSgprs: 38
; NumVgprs: 256
; NumAgprs: 154
; TotalNumVgprs: 410
; ScratchSize: 0
; MemoryBound: 0
; FloatMode: 240
; IeeeMode: 1
; LDSByteSize: 18816 bytes/workgroup (compile time only)
; SGPRBlocks: 4
; VGPRBlocks: 51
; NumSGPRsForWavesPerEU: 38
; NumVGPRsForWavesPerEU: 410
; AccumOffset: 256
; Occupancy: 1
; WaveLimiterHint : 1
; COMPUTE_PGM_RSRC2:SCRATCH_EN: 0
; COMPUTE_PGM_RSRC2:USER_SGPR: 2
; COMPUTE_PGM_RSRC2:TRAP_HANDLER: 0
; COMPUTE_PGM_RSRC2:TGID_X_EN: 1
; COMPUTE_PGM_RSRC2:TGID_Y_EN: 0
; COMPUTE_PGM_RSRC2:TGID_Z_EN: 0
; COMPUTE_PGM_RSRC2:TIDIG_COMP_CNT: 0
; COMPUTE_PGM_RSRC3_GFX90A:ACCUM_OFFSET: 63
; COMPUTE_PGM_RSRC3_GFX90A:TG_SPLIT: 0
	.text
	.p2alignl 6, 3212836864
	.fill 256, 4, 3212836864
	.type	__hip_cuid_64a3eff067494316,@object ; @__hip_cuid_64a3eff067494316
	.section	.bss,"aw",@nobits
	.globl	__hip_cuid_64a3eff067494316
__hip_cuid_64a3eff067494316:
	.byte	0                               ; 0x0
	.size	__hip_cuid_64a3eff067494316, 1

	.ident	"AMD clang version 19.0.0git (https://github.com/RadeonOpenCompute/llvm-project roc-6.4.0 25133 c7fe45cf4b819c5991fe208aaa96edf142730f1d)"
	.section	".note.GNU-stack","",@progbits
	.addrsig
	.addrsig_sym __hip_cuid_64a3eff067494316
	.amdgpu_metadata
---
amdhsa.kernels:
  - .agpr_count:     154
    .args:
      - .actual_access:  read_only
        .address_space:  global
        .offset:         0
        .size:           8
        .value_kind:     global_buffer
      - .actual_access:  read_only
        .address_space:  global
        .offset:         8
        .size:           8
        .value_kind:     global_buffer
      - .actual_access:  read_only
        .address_space:  global
        .offset:         16
        .size:           8
        .value_kind:     global_buffer
      - .actual_access:  read_only
        .address_space:  global
        .offset:         24
        .size:           8
        .value_kind:     global_buffer
      - .actual_access:  read_only
        .address_space:  global
        .offset:         32
        .size:           8
        .value_kind:     global_buffer
      - .offset:         40
        .size:           8
        .value_kind:     by_value
      - .address_space:  global
        .offset:         48
        .size:           8
        .value_kind:     global_buffer
      - .address_space:  global
        .offset:         56
        .size:           8
        .value_kind:     global_buffer
      - .address_space:  global
        .offset:         64
        .size:           8
        .value_kind:     global_buffer
      - .address_space:  global
        .offset:         72
        .size:           8
        .value_kind:     global_buffer
      - .offset:         80
        .size:           4
        .value_kind:     by_value
      - .address_space:  global
        .offset:         88
        .size:           8
        .value_kind:     global_buffer
      - .address_space:  global
        .offset:         96
        .size:           8
        .value_kind:     global_buffer
    .group_segment_fixed_size: 18816
    .kernarg_segment_align: 8
    .kernarg_segment_size: 104
    .language:       OpenCL C
    .language_version:
      - 2
      - 0
    .max_flat_workgroup_size: 56
    .name:           bluestein_single_back_len1176_dim1_dp_op_CI_CI
    .private_segment_fixed_size: 0
    .sgpr_count:     38
    .sgpr_spill_count: 0
    .symbol:         bluestein_single_back_len1176_dim1_dp_op_CI_CI.kd
    .uniform_work_group_size: 1
    .uses_dynamic_stack: false
    .vgpr_count:     410
    .vgpr_spill_count: 0
    .wavefront_size: 64
amdhsa.target:   amdgcn-amd-amdhsa--gfx950
amdhsa.version:
  - 1
  - 2
...

	.end_amdgpu_metadata
